;; amdgpu-corpus repo=ROCm/rocFFT kind=compiled arch=gfx950 opt=O3
	.text
	.amdgcn_target "amdgcn-amd-amdhsa--gfx950"
	.amdhsa_code_object_version 6
	.protected	bluestein_single_back_len1105_dim1_sp_op_CI_CI ; -- Begin function bluestein_single_back_len1105_dim1_sp_op_CI_CI
	.globl	bluestein_single_back_len1105_dim1_sp_op_CI_CI
	.p2align	8
	.type	bluestein_single_back_len1105_dim1_sp_op_CI_CI,@function
bluestein_single_back_len1105_dim1_sp_op_CI_CI: ; @bluestein_single_back_len1105_dim1_sp_op_CI_CI
; %bb.0:
	s_load_dwordx4 s[4:7], s[0:1], 0x28
	v_mul_u32_u24_e32 v1, 0x304, v0
	v_lshrrev_b32_e32 v2, 16, v1
	v_mad_u64_u32 v[242:243], s[2:3], s2, 3, v[2:3]
	v_mov_b32_e32 v241, 0
	v_mov_b32_e32 v243, v241
	s_waitcnt lgkmcnt(0)
	v_cmp_gt_u64_e32 vcc, s[4:5], v[242:243]
	s_and_saveexec_b64 s[2:3], vcc
	s_cbranch_execz .LBB0_23
; %bb.1:
	v_mul_lo_u16_e32 v1, 0x55, v2
	s_mov_b32 s2, 0xaaaaaaab
	v_sub_u16_e32 v240, v0, v1
	v_mul_hi_u32 v0, v242, s2
	s_load_dwordx2 s[12:13], s[0:1], 0x0
	s_load_dwordx2 s[14:15], s[0:1], 0x38
	v_lshrrev_b32_e32 v0, 1, v0
	v_lshl_add_u32 v0, v0, 1, v0
	v_sub_u32_e32 v0, v242, v0
	v_mul_u32_u24_e32 v243, 0x451, v0
	s_movk_i32 s2, 0x41
	v_cmp_gt_u16_e64 s[4:5], s2, v240
	v_lshlrev_b32_e32 v238, 3, v240
	v_lshlrev_b32_e32 v90, 3, v243
	s_and_saveexec_b64 s[2:3], s[4:5]
	s_cbranch_execz .LBB0_3
; %bb.2:
	s_load_dwordx2 s[8:9], s[0:1], 0x18
	v_mov_b32_e32 v0, s6
	v_mov_b32_e32 v1, s7
	;; [unrolled: 1-line block ×4, first 2 shown]
	s_waitcnt lgkmcnt(0)
	s_load_dwordx4 s[8:11], s[8:9], 0x0
	v_lshl_add_u64 v[20:21], s[12:13], 0, v[238:239]
	s_waitcnt lgkmcnt(0)
	v_mad_u64_u32 v[2:3], s[6:7], s10, v242, 0
	v_mad_u64_u32 v[4:5], s[6:7], s8, v240, 0
	v_mov_b32_e32 v6, v3
	v_mov_b32_e32 v8, v5
	v_mad_u64_u32 v[6:7], s[6:7], s11, v242, v[6:7]
	v_mov_b32_e32 v3, v6
	v_mad_u64_u32 v[6:7], s[6:7], s9, v240, v[8:9]
	v_mov_b32_e32 v5, v6
	v_lshl_add_u64 v[0:1], v[2:3], 3, v[0:1]
	v_lshl_add_u64 v[16:17], v[4:5], 3, v[0:1]
	s_movk_i32 s6, 0x1000
	global_load_dwordx2 v[0:1], v[16:17], off
	v_add_co_u32_e32 v22, vcc, s6, v20
	s_mulk_i32 s9, 0x208
	v_mad_u64_u32 v[16:17], s[6:7], s8, v67, v[16:17]
	v_add_u32_e32 v17, s9, v17
	global_load_dwordx2 v[2:3], v238, s[12:13]
	global_load_dwordx2 v[4:5], v238, s[12:13] offset:520
	global_load_dwordx2 v[6:7], v238, s[12:13] offset:1040
	;; [unrolled: 1-line block ×7, first 2 shown]
	global_load_dwordx2 v[24:25], v[16:17], off
	v_mad_u64_u32 v[16:17], s[6:7], s8, v67, v[16:17]
	v_add_u32_e32 v17, s9, v17
	global_load_dwordx2 v[26:27], v[16:17], off
	v_mad_u64_u32 v[16:17], s[6:7], s8, v67, v[16:17]
	v_add_u32_e32 v17, s9, v17
	;; [unrolled: 3-line block ×5, first 2 shown]
	v_addc_co_u32_e32 v23, vcc, 0, v21, vcc
	global_load_dwordx2 v[34:35], v[16:17], off
	global_load_dwordx2 v[36:37], v[22:23], off offset:64
	global_load_dwordx2 v[38:39], v[22:23], off offset:584
	;; [unrolled: 1-line block ×4, first 2 shown]
	v_mad_u64_u32 v[16:17], s[6:7], s8, v67, v[16:17]
	v_add_u32_e32 v17, s9, v17
	global_load_dwordx2 v[44:45], v[16:17], off
	v_mad_u64_u32 v[16:17], s[6:7], s8, v67, v[16:17]
	v_add_u32_e32 v17, s9, v17
	global_load_dwordx2 v[46:47], v[16:17], off
	;; [unrolled: 3-line block ×3, first 2 shown]
	v_mad_u64_u32 v[16:17], s[6:7], s8, v67, v[16:17]
	v_add_co_u32_e32 v20, vcc, 0x2000, v20
	v_add_u32_e32 v17, s9, v17
	s_nop 0
	v_addc_co_u32_e32 v21, vcc, 0, v21, vcc
	global_load_dwordx2 v[50:51], v[16:17], off
	global_load_dwordx2 v[52:53], v[20:21], off offset:128
	v_mad_u64_u32 v[16:17], s[6:7], s8, v67, v[16:17]
	v_add_u32_e32 v17, s9, v17
	global_load_dwordx2 v[20:21], v[16:17], off
	v_mad_u64_u32 v[16:17], s[6:7], s8, v67, v[16:17]
	v_add_u32_e32 v17, s9, v17
	global_load_dwordx2 v[54:55], v[16:17], off
	global_load_dwordx2 v[56:57], v[22:23], off offset:2144
	v_mad_u64_u32 v[16:17], s[6:7], s8, v67, v[16:17]
	v_add_u32_e32 v17, s9, v17
	global_load_dwordx2 v[58:59], v[16:17], off
	global_load_dwordx2 v[60:61], v[22:23], off offset:2664
	;; [unrolled: 4-line block ×4, first 2 shown]
	v_mad_u64_u32 v[16:17], s[6:7], s8, v67, v[16:17]
	v_add_u32_e32 v17, s9, v17
	global_load_dwordx2 v[16:17], v[16:17], off
	v_add_u32_e32 v22, v90, v238
	s_waitcnt vmcnt(32)
	v_mul_f32_e32 v66, v1, v3
	v_mul_f32_e32 v3, v0, v3
	v_fma_f32 v67, v1, v2, -v3
	v_fmac_f32_e32 v66, v0, v2
	v_lshl_add_u32 v0, v240, 3, v90
	ds_write_b64 v0, v[66:67]
	s_waitcnt vmcnt(24)
	v_mul_f32_e32 v0, v25, v5
	v_mul_f32_e32 v1, v24, v5
	v_fmac_f32_e32 v0, v24, v4
	v_fma_f32 v1, v25, v4, -v1
	s_waitcnt vmcnt(23)
	v_mul_f32_e32 v2, v27, v7
	v_mul_f32_e32 v3, v26, v7
	v_fmac_f32_e32 v2, v26, v6
	v_fma_f32 v3, v27, v6, -v3
	ds_write2_b64 v22, v[0:1], v[2:3] offset0:65 offset1:130
	s_waitcnt vmcnt(22)
	v_mul_f32_e32 v0, v29, v9
	v_mul_f32_e32 v1, v28, v9
	v_fmac_f32_e32 v0, v28, v8
	s_waitcnt vmcnt(21)
	v_mul_f32_e32 v2, v31, v11
	v_mul_f32_e32 v3, v30, v11
	v_fma_f32 v1, v29, v8, -v1
	v_fmac_f32_e32 v2, v30, v10
	v_fma_f32 v3, v31, v10, -v3
	v_add_u32_e32 v4, 0x400, v22
	ds_write2_b64 v4, v[0:1], v[2:3] offset0:67 offset1:132
	s_waitcnt vmcnt(20)
	v_mul_f32_e32 v0, v33, v13
	v_mul_f32_e32 v1, v32, v13
	s_waitcnt vmcnt(19)
	v_mul_f32_e32 v2, v35, v15
	v_mul_f32_e32 v3, v34, v15
	v_fmac_f32_e32 v0, v32, v12
	v_fma_f32 v1, v33, v12, -v1
	v_fmac_f32_e32 v2, v34, v14
	v_fma_f32 v3, v35, v14, -v3
	v_add_u32_e32 v4, 0x800, v22
	ds_write2_b64 v4, v[0:1], v[2:3] offset0:69 offset1:134
	s_waitcnt vmcnt(14)
	v_mul_f32_e32 v0, v45, v19
	v_mul_f32_e32 v1, v44, v19
	s_waitcnt vmcnt(13)
	v_mul_f32_e32 v2, v47, v37
	v_mul_f32_e32 v3, v46, v37
	v_fmac_f32_e32 v0, v44, v18
	;; [unrolled: 12-line block ×6, first 2 shown]
	v_fma_f32 v1, v69, v70, -v1
	v_fmac_f32_e32 v2, v16, v52
	v_fma_f32 v3, v17, v52, -v3
	v_add_u32_e32 v4, 0x1c00, v22
	ds_write2_b64 v4, v[0:1], v[2:3] offset0:79 offset1:144
.LBB0_3:
	s_or_b64 exec, exec, s[2:3]
	s_load_dwordx2 s[2:3], s[0:1], 0x20
	s_load_dwordx2 s[6:7], s[0:1], 0x8
	v_mov_b32_e32 v0, 0
	v_mov_b32_e32 v1, 0
	s_waitcnt lgkmcnt(0)
	s_barrier
	s_waitcnt lgkmcnt(0)
                                        ; implicit-def: $vgpr6
                                        ; implicit-def: $vgpr12
                                        ; implicit-def: $vgpr10
                                        ; implicit-def: $vgpr20
                                        ; implicit-def: $vgpr18
                                        ; implicit-def: $vgpr30
                                        ; implicit-def: $vgpr24
                                        ; implicit-def: $vgpr58
	s_and_saveexec_b64 s[0:1], s[4:5]
	s_cbranch_execz .LBB0_5
; %bb.4:
	v_lshlrev_b32_e32 v0, 3, v240
	v_lshl_add_u32 v32, v243, 3, v0
	v_add_u32_e32 v4, 0x800, v32
	v_add_u32_e32 v12, 0x1000, v32
	;; [unrolled: 1-line block ×3, first 2 shown]
	ds_read2_b64 v[0:3], v32 offset1:65
	ds_read2_b64 v[24:27], v32 offset0:130 offset1:195
	ds_read2_b64 v[16:19], v4 offset0:4 offset1:69
	;; [unrolled: 1-line block ×7, first 2 shown]
	ds_read_b64 v[58:59], v32 offset:8320
.LBB0_5:
	s_or_b64 exec, exec, s[0:1]
	s_waitcnt lgkmcnt(0)
	v_pk_add_f32 v[36:37], v[2:3], v[58:59] neg_lo:[0,1] neg_hi:[0,1]
	s_mov_b32 s18, 0xbeb8f4ab
	v_pk_add_f32 v[32:33], v[58:59], v[2:3]
	s_mov_b32 s10, 0x3f6eb680
	v_pk_mul_f32 v[34:35], v[36:37], s[18:19] op_sel_hi:[1,0]
	v_pk_add_f32 v[38:39], v[24:25], v[30:31] neg_lo:[0,1] neg_hi:[0,1]
	s_mov_b32 s38, 0xbf2c7751
	v_pk_fma_f32 v[68:69], v[32:33], s[10:11], v[34:35] op_sel:[0,0,1] op_sel_hi:[1,0,0]
	v_pk_fma_f32 v[66:67], v[32:33], s[10:11], v[34:35] op_sel:[0,0,1] op_sel_hi:[1,0,0] neg_lo:[0,0,1] neg_hi:[0,0,1]
	v_pk_add_f32 v[34:35], v[30:31], v[24:25]
	s_mov_b32 s8, 0x3f3d2fb0
	v_pk_mul_f32 v[40:41], v[36:37], s[38:39] op_sel_hi:[1,0]
	s_mov_b32 s28, 0xbf7ee86f
	v_pk_mul_f32 v[48:49], v[38:39], s[38:39] op_sel_hi:[1,0]
	v_pk_fma_f32 v[70:71], v[32:33], s[8:9], v[40:41] op_sel:[0,0,1] op_sel_hi:[1,0,0]
	v_pk_fma_f32 v[62:63], v[32:33], s[8:9], v[40:41] op_sel:[0,0,1] op_sel_hi:[1,0,0] neg_lo:[0,0,1] neg_hi:[0,0,1]
	s_mov_b32 s0, 0x3dbcf732
	v_pk_mul_f32 v[40:41], v[38:39], s[28:29] op_sel_hi:[1,0]
	v_mov_b32_e32 v44, v68
	v_mov_b32_e32 v45, v67
	v_pk_fma_f32 v[80:81], v[34:35], s[8:9], v[48:49] op_sel:[0,0,1] op_sel_hi:[1,0,0]
	v_pk_fma_f32 v[78:79], v[34:35], s[8:9], v[48:49] op_sel:[0,0,1] op_sel_hi:[1,0,0] neg_lo:[0,0,1] neg_hi:[0,0,1]
	v_pk_fma_f32 v[72:73], v[34:35], s[0:1], v[40:41] op_sel:[0,0,1] op_sel_hi:[1,0,0]
	v_pk_fma_f32 v[64:65], v[34:35], s[0:1], v[40:41] op_sel:[0,0,1] op_sel_hi:[1,0,0] neg_lo:[0,0,1] neg_hi:[0,0,1]
	v_pk_add_f32 v[44:45], v[44:45], v[0:1]
	v_mov_b32_e32 v46, v70
	v_mov_b32_e32 v47, v63
	v_mov_b32_e32 v48, v80
	v_mov_b32_e32 v49, v79
	v_pk_add_f32 v[42:43], v[26:27], v[28:29] neg_lo:[0,1] neg_hi:[0,1]
	v_pk_add_f32 v[46:47], v[46:47], v[0:1]
	v_pk_add_f32 v[44:45], v[48:49], v[44:45]
	v_mov_b32_e32 v48, v72
	v_mov_b32_e32 v49, v65
	s_mov_b32 s48, 0xbf65296c
	v_pk_add_f32 v[40:41], v[28:29], v[26:27]
	v_pk_add_f32 v[46:47], v[48:49], v[46:47]
	s_mov_b32 s16, 0x3ee437d1
	v_pk_mul_f32 v[48:49], v[42:43], s[48:49] op_sel_hi:[1,0]
	s_mov_b32 s22, 0xbf4c4adb
	v_pk_fma_f32 v[94:95], v[40:41], s[16:17], v[48:49] op_sel:[0,0,1] op_sel_hi:[1,0,0]
	v_pk_fma_f32 v[96:97], v[40:41], s[16:17], v[48:49] op_sel:[0,0,1] op_sel_hi:[1,0,0] neg_lo:[0,0,1] neg_hi:[0,0,1]
	v_mov_b32_e32 v48, v94
	v_mov_b32_e32 v49, v97
	v_pk_add_f32 v[48:49], v[48:49], v[44:45]
	s_mov_b32 s20, 0xbf1a4643
	v_pk_mul_f32 v[44:45], v[42:43], s[22:23] op_sel_hi:[1,0]
	v_pk_add_f32 v[114:115], v[16:17], v[22:23] neg_lo:[0,1] neg_hi:[0,1]
	v_pk_fma_f32 v[74:75], v[40:41], s[20:21], v[44:45] op_sel:[0,0,1] op_sel_hi:[1,0,0]
	v_pk_fma_f32 v[76:77], v[40:41], s[20:21], v[44:45] op_sel:[0,0,1] op_sel_hi:[1,0,0] neg_lo:[0,0,1] neg_hi:[0,0,1]
	v_mov_b32_e32 v44, v74
	v_mov_b32_e32 v45, v77
	v_pk_add_f32 v[46:47], v[44:45], v[46:47]
	v_pk_add_f32 v[44:45], v[22:23], v[16:17]
	v_pk_mul_f32 v[50:51], v[114:115], s[28:29] op_sel:[1,0] op_sel_hi:[0,0]
	v_pk_fma_f32 v[98:99], v[44:45], s[0:1], v[50:51] op_sel_hi:[1,0,1]
	v_pk_fma_f32 v[104:105], v[44:45], s[0:1], v[50:51] op_sel_hi:[1,0,1] neg_lo:[0,0,1] neg_hi:[0,0,1]
	v_mov_b32_e32 v50, v98
	v_mov_b32_e32 v51, v105
	s_mov_b32 s34, 0xbe3c28d5
	v_pk_add_f32 v[48:49], v[50:51], v[48:49]
	s_mov_b32 s30, 0xbf7ba420
	v_pk_mul_f32 v[50:51], v[114:115], s[34:35] op_sel:[1,0] op_sel_hi:[0,0]
	v_pk_fma_f32 v[82:83], v[44:45], s[30:31], v[50:51] op_sel_hi:[1,0,1]
	v_pk_fma_f32 v[84:85], v[44:45], s[30:31], v[50:51] op_sel_hi:[1,0,1] neg_lo:[0,0,1] neg_hi:[0,0,1]
	v_mov_b32_e32 v50, v82
	v_mov_b32_e32 v51, v85
	s_mov_b32 s26, 0xbf763a35
	v_pk_add_f32 v[124:125], v[18:19], v[20:21] neg_lo:[0,1] neg_hi:[0,1]
	v_pk_add_f32 v[50:51], v[50:51], v[46:47]
	s_mov_b32 s24, 0xbe8c1d8e
	v_pk_add_f32 v[46:47], v[20:21], v[18:19]
	v_pk_mul_f32 v[52:53], v[124:125], s[26:27] op_sel:[1,0] op_sel_hi:[0,0]
	v_pk_fma_f32 v[110:111], v[46:47], s[24:25], v[52:53] op_sel_hi:[1,0,1]
	v_pk_fma_f32 v[112:113], v[46:47], s[24:25], v[52:53] op_sel_hi:[1,0,1] neg_lo:[0,0,1] neg_hi:[0,0,1]
	v_mov_b32_e32 v52, v110
	v_mov_b32_e32 v53, v113
	s_mov_b32 s52, 0x3f06c442
	v_pk_add_f32 v[48:49], v[52:53], v[48:49]
	s_mov_b32 s36, 0xbf59a7d5
	v_pk_mul_f32 v[52:53], v[124:125], s[52:53] op_sel:[1,0] op_sel_hi:[0,0]
	v_pk_fma_f32 v[100:101], v[46:47], s[36:37], v[52:53] op_sel_hi:[1,0,1]
	v_pk_fma_f32 v[102:103], v[46:47], s[36:37], v[52:53] op_sel_hi:[1,0,1] neg_lo:[0,0,1] neg_hi:[0,0,1]
	v_mov_b32_e32 v52, v100
	v_mov_b32_e32 v53, v103
	v_pk_add_f32 v[138:139], v[8:9], v[14:15] neg_lo:[0,1] neg_hi:[0,1]
	v_pk_add_f32 v[50:51], v[52:53], v[50:51]
	v_pk_add_f32 v[52:53], v[14:15], v[8:9]
	v_pk_mul_f32 v[54:55], v[138:139], s[22:23] op_sel:[1,0] op_sel_hi:[0,0]
	v_pk_fma_f32 v[120:121], v[52:53], s[20:21], v[54:55] op_sel_hi:[1,0,1]
	v_pk_fma_f32 v[122:123], v[52:53], s[20:21], v[54:55] op_sel_hi:[1,0,1] neg_lo:[0,0,1] neg_hi:[0,0,1]
	v_mov_b32_e32 v54, v120
	v_mov_b32_e32 v55, v123
	s_mov_b32 s50, 0x3f763a35
	v_pk_add_f32 v[48:49], v[54:55], v[48:49]
	v_pk_mul_f32 v[54:55], v[138:139], s[50:51] op_sel:[1,0] op_sel_hi:[0,0]
	v_pk_fma_f32 v[106:107], v[52:53], s[24:25], v[54:55] op_sel_hi:[1,0,1]
	v_pk_fma_f32 v[108:109], v[52:53], s[24:25], v[54:55] op_sel_hi:[1,0,1] neg_lo:[0,0,1] neg_hi:[0,0,1]
	v_mov_b32_e32 v54, v106
	v_mov_b32_e32 v55, v109
	s_mov_b32 s42, 0xbf06c442
	v_pk_add_f32 v[144:145], v[10:11], v[12:13] neg_lo:[0,1] neg_hi:[0,1]
	v_pk_add_f32 v[50:51], v[54:55], v[50:51]
	v_pk_add_f32 v[54:55], v[12:13], v[10:11]
	v_pk_mul_f32 v[56:57], v[144:145], s[42:43] op_sel:[1,0] op_sel_hi:[0,0]
	v_pk_fma_f32 v[134:135], v[54:55], s[36:37], v[56:57] op_sel_hi:[1,0,1]
	v_pk_fma_f32 v[136:137], v[54:55], s[36:37], v[56:57] op_sel_hi:[1,0,1] neg_lo:[0,0,1] neg_hi:[0,0,1]
	v_mov_b32_e32 v56, v134
	v_mov_b32_e32 v57, v137
	s_mov_b32 s40, 0x3f65296c
	v_pk_add_f32 v[48:49], v[56:57], v[48:49]
	v_pk_mul_f32 v[56:57], v[144:145], s[40:41] op_sel:[1,0] op_sel_hi:[0,0]
	v_pk_fma_f32 v[116:117], v[54:55], s[16:17], v[56:57] op_sel_hi:[1,0,1]
	v_pk_fma_f32 v[118:119], v[54:55], s[16:17], v[56:57] op_sel_hi:[1,0,1] neg_lo:[0,0,1] neg_hi:[0,0,1]
	v_mov_b32_e32 v56, v116
	v_mov_b32_e32 v57, v119
	v_pk_add_f32 v[160:161], v[4:5], v[6:7] neg_lo:[0,1] neg_hi:[0,1]
	v_pk_add_f32 v[50:51], v[56:57], v[50:51]
	v_pk_add_f32 v[56:57], v[6:7], v[4:5]
	v_pk_mul_f32 v[60:61], v[160:161], s[34:35] op_sel:[1,0] op_sel_hi:[0,0]
	v_pk_fma_f32 v[140:141], v[56:57], s[30:31], v[60:61] op_sel_hi:[1,0,1]
	v_pk_fma_f32 v[142:143], v[56:57], s[30:31], v[60:61] op_sel_hi:[1,0,1] neg_lo:[0,0,1] neg_hi:[0,0,1]
	v_mov_b32_e32 v60, v140
	v_mov_b32_e32 v61, v143
	v_pk_add_f32 v[244:245], v[60:61], v[48:49]
	v_pk_mul_f32 v[48:49], v[36:37], s[48:49] op_sel_hi:[1,0]
	v_pk_mul_f32 v[60:61], v[38:39], s[22:23] op_sel_hi:[1,0]
	v_pk_fma_f32 v[126:127], v[32:33], s[16:17], v[48:49] op_sel:[0,0,1] op_sel_hi:[1,0,0]
	v_pk_fma_f32 v[128:129], v[32:33], s[16:17], v[48:49] op_sel:[0,0,1] op_sel_hi:[1,0,0] neg_lo:[0,0,1] neg_hi:[0,0,1]
	v_mov_b32_e32 v48, v126
	v_mov_b32_e32 v49, v129
	v_pk_fma_f32 v[130:131], v[34:35], s[20:21], v[60:61] op_sel:[0,0,1] op_sel_hi:[1,0,0]
	v_pk_fma_f32 v[132:133], v[34:35], s[20:21], v[60:61] op_sel:[0,0,1] op_sel_hi:[1,0,0] neg_lo:[0,0,1] neg_hi:[0,0,1]
	v_mov_b32_e32 v60, v130
	v_mov_b32_e32 v61, v133
	v_pk_add_f32 v[48:49], v[48:49], v[0:1]
	s_mov_b32 s44, 0x3e3c28d5
	v_pk_add_f32 v[48:49], v[60:61], v[48:49]
	v_pk_mul_f32 v[60:61], v[42:43], s[44:45] op_sel_hi:[1,0]
	s_mov_b32 s46, 0x3f2c7751
	v_pk_fma_f32 v[146:147], v[40:41], s[30:31], v[60:61] op_sel:[0,0,1] op_sel_hi:[1,0,0]
	v_pk_fma_f32 v[148:149], v[40:41], s[30:31], v[60:61] op_sel:[0,0,1] op_sel_hi:[1,0,0] neg_lo:[0,0,1] neg_hi:[0,0,1]
	v_mov_b32_e32 v60, v146
	v_mov_b32_e32 v61, v149
	v_pk_add_f32 v[48:49], v[60:61], v[48:49]
	v_pk_mul_f32 v[60:61], v[114:115], s[50:51] op_sel:[1,0] op_sel_hi:[0,0]
	v_pk_fma_f32 v[150:151], v[44:45], s[24:25], v[60:61] op_sel_hi:[1,0,1]
	v_pk_fma_f32 v[152:153], v[44:45], s[24:25], v[60:61] op_sel_hi:[1,0,1] neg_lo:[0,0,1] neg_hi:[0,0,1]
	v_mov_b32_e32 v60, v150
	v_mov_b32_e32 v61, v153
	v_pk_add_f32 v[48:49], v[60:61], v[48:49]
	v_pk_mul_f32 v[60:61], v[124:125], s[46:47] op_sel:[1,0] op_sel_hi:[0,0]
	v_pk_fma_f32 v[154:155], v[46:47], s[8:9], v[60:61] op_sel_hi:[1,0,1]
	v_pk_fma_f32 v[156:157], v[46:47], s[8:9], v[60:61] op_sel_hi:[1,0,1] neg_lo:[0,0,1] neg_hi:[0,0,1]
	;; [unrolled: 6-line block ×5, first 2 shown]
	v_mov_b32_e32 v60, v176
	v_mov_b32_e32 v61, v179
	v_pk_add_f32 v[48:49], v[60:61], v[48:49]
	v_pk_mul_f32 v[60:61], v[36:37], s[28:29] op_sel_hi:[1,0]
	v_pk_mul_f32 v[174:175], v[38:39], s[34:35] op_sel_hi:[1,0]
	v_pk_fma_f32 v[164:165], v[32:33], s[0:1], v[60:61] op_sel:[0,0,1] op_sel_hi:[1,0,0]
	v_pk_fma_f32 v[166:167], v[32:33], s[0:1], v[60:61] op_sel:[0,0,1] op_sel_hi:[1,0,0] neg_lo:[0,0,1] neg_hi:[0,0,1]
	v_mov_b32_e32 v60, v164
	v_mov_b32_e32 v61, v167
	v_pk_fma_f32 v[172:173], v[34:35], s[30:31], v[174:175] op_sel:[0,0,1] op_sel_hi:[1,0,0]
	v_pk_fma_f32 v[174:175], v[34:35], s[30:31], v[174:175] op_sel:[0,0,1] op_sel_hi:[1,0,0] neg_lo:[0,0,1] neg_hi:[0,0,1]
	v_mov_b32_e32 v180, v172
	v_mov_b32_e32 v181, v175
	v_pk_add_f32 v[60:61], v[60:61], v[0:1]
	v_pk_mul_f32 v[182:183], v[42:43], s[50:51] op_sel_hi:[1,0]
	v_pk_add_f32 v[60:61], v[180:181], v[60:61]
	v_pk_fma_f32 v[180:181], v[40:41], s[24:25], v[182:183] op_sel:[0,0,1] op_sel_hi:[1,0,0]
	v_pk_fma_f32 v[182:183], v[40:41], s[24:25], v[182:183] op_sel:[0,0,1] op_sel_hi:[1,0,0] neg_lo:[0,0,1] neg_hi:[0,0,1]
	s_mov_b32 s54, 0x3eb8f4ab
	v_mov_b32_e32 v184, v180
	v_mov_b32_e32 v185, v183
	v_pk_mul_f32 v[186:187], v[114:115], s[54:55] op_sel:[1,0] op_sel_hi:[0,0]
	v_pk_add_f32 v[60:61], v[184:185], v[60:61]
	v_pk_fma_f32 v[184:185], v[44:45], s[10:11], v[186:187] op_sel_hi:[1,0,1]
	v_pk_fma_f32 v[186:187], v[44:45], s[10:11], v[186:187] op_sel_hi:[1,0,1] neg_lo:[0,0,1] neg_hi:[0,0,1]
	v_mov_b32_e32 v188, v184
	v_mov_b32_e32 v189, v187
	v_pk_mul_f32 v[190:191], v[124:125], s[48:49] op_sel:[1,0] op_sel_hi:[0,0]
	v_pk_add_f32 v[60:61], v[188:189], v[60:61]
	v_pk_fma_f32 v[188:189], v[46:47], s[16:17], v[190:191] op_sel_hi:[1,0,1]
	v_pk_fma_f32 v[190:191], v[46:47], s[16:17], v[190:191] op_sel_hi:[1,0,1] neg_lo:[0,0,1] neg_hi:[0,0,1]
	;; [unrolled: 6-line block ×3, first 2 shown]
	s_mov_b32 s56, 0x3f4c4adb
	v_mov_b32_e32 v196, v192
	v_mov_b32_e32 v197, v195
	v_pk_mul_f32 v[198:199], v[144:145], s[56:57] op_sel:[1,0] op_sel_hi:[0,0]
	v_pk_add_f32 v[60:61], v[196:197], v[60:61]
	v_pk_fma_f32 v[196:197], v[54:55], s[20:21], v[198:199] op_sel_hi:[1,0,1]
	v_pk_fma_f32 v[198:199], v[54:55], s[20:21], v[198:199] op_sel_hi:[1,0,1] neg_lo:[0,0,1] neg_hi:[0,0,1]
	v_mov_b32_e32 v200, v196
	v_mov_b32_e32 v201, v199
	v_pk_add_f32 v[60:61], v[200:201], v[60:61]
	v_pk_mul_f32 v[200:201], v[160:161], s[54:55] op_sel:[1,0] op_sel_hi:[0,0]
	v_pk_fma_f32 v[204:205], v[56:57], s[10:11], v[200:201] op_sel_hi:[1,0,1]
	v_pk_fma_f32 v[206:207], v[56:57], s[10:11], v[200:201] op_sel_hi:[1,0,1] neg_lo:[0,0,1] neg_hi:[0,0,1]
	v_mov_b32_e32 v200, v204
	v_mov_b32_e32 v201, v207
	v_pk_mul_f32 v[202:203], v[160:161], s[46:47] op_sel:[1,0] op_sel_hi:[0,0]
	v_pk_add_f32 v[50:51], v[200:201], v[50:51]
	v_pk_fma_f32 v[200:201], v[56:57], s[8:9], v[202:203] op_sel_hi:[1,0,1]
	v_pk_fma_f32 v[202:203], v[56:57], s[8:9], v[202:203] op_sel_hi:[1,0,1] neg_lo:[0,0,1] neg_hi:[0,0,1]
	v_mov_b32_e32 v208, v200
	v_mov_b32_e32 v209, v203
	v_pk_add_f32 v[60:61], v[208:209], v[60:61]
	s_barrier
	s_and_saveexec_b64 s[44:45], s[4:5]
	s_cbranch_execz .LBB0_7
; %bb.6:
	v_pk_add_f32 v[2:3], v[2:3], v[0:1]
	v_mov_b32_e32 v67, v69
	v_pk_add_f32 v[2:3], v[24:25], v[2:3]
	v_mov_b32_e32 v79, v81
	;; [unrolled: 2-line block ×7, first 2 shown]
	v_pk_add_f32 v[2:3], v[4:5], v[2:3]
	v_mul_lo_u16_e32 v16, 17, v240
	v_pk_add_f32 v[2:3], v[6:7], v[2:3]
	v_mov_b32_e32 v143, v141
	v_pk_add_f32 v[2:3], v[12:13], v[2:3]
	v_mov_b32_e32 v63, v71
	v_pk_add_f32 v[2:3], v[14:15], v[2:3]
	v_pk_add_f32 v[14:15], v[66:67], v[0:1]
	;; [unrolled: 1-line block ×12, first 2 shown]
	v_add_lshl_u32 v86, v243, v16, 3
	v_pk_add_f32 v[14:15], v[136:137], v[14:15]
	v_mov_b32_e32 v129, v127
	v_pk_add_f32 v[14:15], v[142:143], v[14:15]
	v_mov_b32_e32 v65, v73
	ds_write2_b64 v86, v[12:13], v[14:15] offset1:1
	v_pk_add_f32 v[12:13], v[62:63], v[0:1]
	v_pk_add_f32 v[14:15], v[128:129], v[0:1]
	v_mov_b32_e32 v133, v131
	v_pk_add_f32 v[12:13], v[64:65], v[12:13]
	v_mov_b32_e32 v77, v75
	;; [unrolled: 2-line block ×13, first 2 shown]
	v_pk_add_f32 v[12:13], v[206:207], v[12:13]
	v_pk_add_f32 v[14:15], v[178:179], v[14:15]
	v_mov_b32_e32 v167, v165
	ds_write2_b64 v86, v[12:13], v[14:15] offset0:2 offset1:3
	v_pk_add_f32 v[12:13], v[166:167], v[0:1]
	v_mov_b32_e32 v175, v173
	v_pk_add_f32 v[12:13], v[174:175], v[12:13]
	v_mov_b32_e32 v183, v181
	;; [unrolled: 2-line block ×7, first 2 shown]
	v_pk_mul_f32 v[14:15], v[36:37], s[26:27] op_sel_hi:[1,0]
	v_pk_add_f32 v[72:73], v[202:203], v[12:13]
	v_pk_fma_f32 v[12:13], v[32:33], s[24:25], v[14:15] op_sel:[0,0,1] op_sel_hi:[1,0,0] neg_lo:[0,0,1] neg_hi:[0,0,1]
	v_pk_fma_f32 v[14:15], v[32:33], s[24:25], v[14:15] op_sel:[0,0,1] op_sel_hi:[1,0,0]
	v_mov_b32_e32 v16, v12
	v_mov_b32_e32 v17, v15
	v_pk_mul_f32 v[18:19], v[38:39], s[52:53] op_sel_hi:[1,0]
	v_pk_add_f32 v[20:21], v[16:17], v[0:1]
	v_pk_fma_f32 v[16:17], v[34:35], s[36:37], v[18:19] op_sel:[0,0,1] op_sel_hi:[1,0,0] neg_lo:[0,0,1] neg_hi:[0,0,1]
	v_pk_fma_f32 v[18:19], v[34:35], s[36:37], v[18:19] op_sel:[0,0,1] op_sel_hi:[1,0,0]
	v_mov_b32_e32 v22, v16
	v_mov_b32_e32 v23, v19
	v_pk_add_f32 v[24:25], v[22:23], v[20:21]
	v_pk_mul_f32 v[22:23], v[42:43], s[46:47] op_sel_hi:[1,0]
	v_mov_b32_e32 v10, v115
	v_pk_fma_f32 v[20:21], v[40:41], s[8:9], v[22:23] op_sel:[0,0,1] op_sel_hi:[1,0,0] neg_lo:[0,0,1] neg_hi:[0,0,1]
	v_pk_fma_f32 v[22:23], v[40:41], s[8:9], v[22:23] op_sel:[0,0,1] op_sel_hi:[1,0,0]
	v_mov_b32_e32 v11, v114
	v_mov_b32_e32 v26, v20
	;; [unrolled: 1-line block ×3, first 2 shown]
	v_pk_add_f32 v[28:29], v[26:27], v[24:25]
	v_pk_mul_f32 v[26:27], v[10:11], s[48:49] op_sel_hi:[1,0]
	v_mov_b32_e32 v8, v125
	v_pk_fma_f32 v[24:25], v[44:45], s[16:17], v[26:27] op_sel_hi:[1,0,1] neg_lo:[0,0,1] neg_hi:[0,0,1]
	v_pk_fma_f32 v[26:27], v[44:45], s[16:17], v[26:27] op_sel_hi:[1,0,1]
	v_mov_b32_e32 v9, v124
	v_mov_b32_e32 v30, v24
	;; [unrolled: 1-line block ×3, first 2 shown]
	v_pk_add_f32 v[58:59], v[30:31], v[28:29]
	v_pk_mul_f32 v[30:31], v[8:9], s[34:35] op_sel_hi:[1,0]
	v_mov_b32_e32 v6, v139
	v_pk_fma_f32 v[28:29], v[46:47], s[30:31], v[30:31] op_sel_hi:[1,0,1] neg_lo:[0,0,1] neg_hi:[0,0,1]
	v_pk_fma_f32 v[30:31], v[46:47], s[30:31], v[30:31] op_sel_hi:[1,0,1]
	v_mov_b32_e32 v7, v138
	v_mov_b32_e32 v62, v28
	;; [unrolled: 1-line block ×3, first 2 shown]
	s_mov_b32 s48, 0x3f7ee86f
	v_pk_add_f32 v[64:65], v[62:63], v[58:59]
	v_pk_mul_f32 v[62:63], v[6:7], s[48:49] op_sel_hi:[1,0]
	v_mov_b32_e32 v4, v145
	v_pk_fma_f32 v[58:59], v[52:53], s[0:1], v[62:63] op_sel_hi:[1,0,1] neg_lo:[0,0,1] neg_hi:[0,0,1]
	v_pk_fma_f32 v[62:63], v[52:53], s[0:1], v[62:63] op_sel_hi:[1,0,1]
	v_mov_b32_e32 v5, v144
	v_mov_b32_e32 v66, v58
	;; [unrolled: 1-line block ×3, first 2 shown]
	v_pk_add_f32 v[68:69], v[66:67], v[64:65]
	v_pk_mul_f32 v[66:67], v[4:5], s[18:19] op_sel_hi:[1,0]
	v_mov_b32_e32 v2, v161
	v_pk_fma_f32 v[64:65], v[54:55], s[10:11], v[66:67] op_sel_hi:[1,0,1] neg_lo:[0,0,1] neg_hi:[0,0,1]
	v_pk_fma_f32 v[66:67], v[54:55], s[10:11], v[66:67] op_sel_hi:[1,0,1]
	v_mov_b32_e32 v3, v160
	v_mov_b32_e32 v70, v64
	;; [unrolled: 1-line block ×3, first 2 shown]
	v_pk_add_f32 v[74:75], v[70:71], v[68:69]
	v_pk_mul_f32 v[70:71], v[2:3], s[22:23] op_sel_hi:[1,0]
	v_pk_mul_f32 v[78:79], v[38:39], s[50:51] op_sel_hi:[1,0]
	v_pk_fma_f32 v[68:69], v[56:57], s[20:21], v[70:71] op_sel_hi:[1,0,1] neg_lo:[0,0,1] neg_hi:[0,0,1]
	v_pk_fma_f32 v[70:71], v[56:57], s[20:21], v[70:71] op_sel_hi:[1,0,1]
	v_mov_b32_e32 v76, v68
	v_mov_b32_e32 v77, v71
	v_pk_add_f32 v[74:75], v[76:77], v[74:75]
	ds_write2_b64 v86, v[72:73], v[74:75] offset0:4 offset1:5
	v_pk_mul_f32 v[72:73], v[36:37], s[22:23] op_sel_hi:[1,0]
	v_pk_fma_f32 v[80:81], v[34:35], s[24:25], v[78:79] op_sel:[0,0,1] op_sel_hi:[1,0,0] neg_lo:[0,0,1] neg_hi:[0,0,1]
	v_pk_fma_f32 v[74:75], v[32:33], s[20:21], v[72:73] op_sel:[0,0,1] op_sel_hi:[1,0,0] neg_lo:[0,0,1] neg_hi:[0,0,1]
	v_pk_fma_f32 v[72:73], v[32:33], s[20:21], v[72:73] op_sel:[0,0,1] op_sel_hi:[1,0,0]
	v_mov_b32_e32 v76, v74
	v_mov_b32_e32 v77, v73
	v_pk_fma_f32 v[78:79], v[34:35], s[24:25], v[78:79] op_sel:[0,0,1] op_sel_hi:[1,0,0]
	v_pk_add_f32 v[76:77], v[76:77], v[0:1]
	v_mov_b32_e32 v82, v80
	v_mov_b32_e32 v83, v79
	v_pk_add_f32 v[76:77], v[82:83], v[76:77]
	v_pk_mul_f32 v[82:83], v[42:43], s[18:19] op_sel_hi:[1,0]
	v_pk_mul_f32 v[120:121], v[38:39], s[40:41] op_sel_hi:[1,0]
	v_pk_fma_f32 v[84:85], v[40:41], s[10:11], v[82:83] op_sel:[0,0,1] op_sel_hi:[1,0,0] neg_lo:[0,0,1] neg_hi:[0,0,1]
	v_pk_fma_f32 v[82:83], v[40:41], s[10:11], v[82:83] op_sel:[0,0,1] op_sel_hi:[1,0,0]
	v_mov_b32_e32 v94, v84
	v_mov_b32_e32 v95, v83
	v_pk_add_f32 v[76:77], v[94:95], v[76:77]
	v_pk_mul_f32 v[94:95], v[10:11], s[42:43] op_sel_hi:[1,0]
	v_pk_fma_f32 v[122:123], v[34:35], s[16:17], v[120:121] op_sel:[0,0,1] op_sel_hi:[1,0,0] neg_lo:[0,0,1] neg_hi:[0,0,1]
	v_pk_fma_f32 v[96:97], v[44:45], s[36:37], v[94:95] op_sel_hi:[1,0,1] neg_lo:[0,0,1] neg_hi:[0,0,1]
	v_pk_fma_f32 v[94:95], v[44:45], s[36:37], v[94:95] op_sel_hi:[1,0,1]
	v_mov_b32_e32 v98, v96
	v_mov_b32_e32 v99, v95
	v_pk_add_f32 v[76:77], v[98:99], v[76:77]
	v_pk_mul_f32 v[98:99], v[8:9], s[48:49] op_sel_hi:[1,0]
	v_pk_fma_f32 v[120:121], v[34:35], s[16:17], v[120:121] op_sel:[0,0,1] op_sel_hi:[1,0,0]
	v_pk_fma_f32 v[100:101], v[46:47], s[0:1], v[98:99] op_sel_hi:[1,0,1] neg_lo:[0,0,1] neg_hi:[0,0,1]
	v_pk_fma_f32 v[98:99], v[46:47], s[0:1], v[98:99] op_sel_hi:[1,0,1]
	v_mov_b32_e32 v102, v100
	v_mov_b32_e32 v103, v99
	v_pk_add_f32 v[76:77], v[102:103], v[76:77]
	v_pk_mul_f32 v[102:103], v[6:7], s[38:39] op_sel_hi:[1,0]
	v_mov_b32_e32 v124, v122
	v_pk_fma_f32 v[104:105], v[52:53], s[8:9], v[102:103] op_sel_hi:[1,0,1] neg_lo:[0,0,1] neg_hi:[0,0,1]
	v_pk_fma_f32 v[102:103], v[52:53], s[8:9], v[102:103] op_sel_hi:[1,0,1]
	v_mov_b32_e32 v106, v104
	v_mov_b32_e32 v107, v103
	v_pk_add_f32 v[76:77], v[106:107], v[76:77]
	v_pk_mul_f32 v[106:107], v[4:5], s[34:35] op_sel_hi:[1,0]
	v_mov_b32_e32 v125, v121
	v_pk_fma_f32 v[108:109], v[54:55], s[30:31], v[106:107] op_sel_hi:[1,0,1] neg_lo:[0,0,1] neg_hi:[0,0,1]
	v_pk_fma_f32 v[106:107], v[54:55], s[30:31], v[106:107] op_sel_hi:[1,0,1]
	v_mov_b32_e32 v110, v108
	v_mov_b32_e32 v111, v107
	v_pk_add_f32 v[76:77], v[110:111], v[76:77]
	v_pk_mul_f32 v[110:111], v[2:3], s[40:41] op_sel_hi:[1,0]
	v_pk_mul_f32 v[38:39], v[38:39], s[54:55] op_sel_hi:[1,0]
	v_pk_fma_f32 v[112:113], v[56:57], s[16:17], v[110:111] op_sel_hi:[1,0,1] neg_lo:[0,0,1] neg_hi:[0,0,1]
	v_pk_fma_f32 v[110:111], v[56:57], s[16:17], v[110:111] op_sel_hi:[1,0,1]
	v_mov_b32_e32 v114, v112
	v_mov_b32_e32 v115, v111
	v_pk_add_f32 v[76:77], v[114:115], v[76:77]
	v_pk_mul_f32 v[114:115], v[36:37], s[42:43] op_sel_hi:[1,0]
	v_pk_mul_f32 v[36:37], v[36:37], s[34:35] op_sel_hi:[1,0]
	v_pk_fma_f32 v[116:117], v[32:33], s[36:37], v[114:115] op_sel:[0,0,1] op_sel_hi:[1,0,0] neg_lo:[0,0,1] neg_hi:[0,0,1]
	v_pk_fma_f32 v[114:115], v[32:33], s[36:37], v[114:115] op_sel:[0,0,1] op_sel_hi:[1,0,0]
	v_mov_b32_e32 v118, v116
	v_mov_b32_e32 v119, v115
	v_pk_add_f32 v[118:119], v[118:119], v[0:1]
	v_mov_b32_e32 v115, v117
	v_pk_add_f32 v[118:119], v[124:125], v[118:119]
	v_pk_mul_f32 v[124:125], v[42:43], s[28:29] op_sel_hi:[1,0]
	v_mov_b32_e32 v73, v75
	v_pk_fma_f32 v[126:127], v[40:41], s[0:1], v[124:125] op_sel:[0,0,1] op_sel_hi:[1,0,0] neg_lo:[0,0,1] neg_hi:[0,0,1]
	v_pk_fma_f32 v[124:125], v[40:41], s[0:1], v[124:125] op_sel:[0,0,1] op_sel_hi:[1,0,0]
	v_mov_b32_e32 v128, v126
	v_mov_b32_e32 v129, v125
	v_pk_add_f32 v[118:119], v[128:129], v[118:119]
	v_pk_mul_f32 v[128:129], v[10:11], s[56:57] op_sel_hi:[1,0]
	v_pk_mul_f32 v[10:11], v[10:11], s[46:47] op_sel_hi:[1,0]
	v_pk_fma_f32 v[130:131], v[44:45], s[20:21], v[128:129] op_sel_hi:[1,0,1] neg_lo:[0,0,1] neg_hi:[0,0,1]
	v_pk_fma_f32 v[128:129], v[44:45], s[20:21], v[128:129] op_sel_hi:[1,0,1]
	v_mov_b32_e32 v132, v130
	v_mov_b32_e32 v133, v129
	v_pk_add_f32 v[118:119], v[132:133], v[118:119]
	v_pk_mul_f32 v[132:133], v[8:9], s[18:19] op_sel_hi:[1,0]
	v_pk_mul_f32 v[8:9], v[8:9], s[22:23] op_sel_hi:[1,0]
	v_pk_fma_f32 v[134:135], v[46:47], s[10:11], v[132:133] op_sel_hi:[1,0,1] neg_lo:[0,0,1] neg_hi:[0,0,1]
	v_pk_fma_f32 v[132:133], v[46:47], s[10:11], v[132:133] op_sel_hi:[1,0,1]
	;; [unrolled: 7-line block ×5, first 2 shown]
	v_mov_b32_e32 v148, v146
	v_mov_b32_e32 v149, v145
	v_pk_add_f32 v[118:119], v[148:149], v[118:119]
	ds_write2_b64 v86, v[76:77], v[118:119] offset0:6 offset1:7
	v_pk_fma_f32 v[76:77], v[32:33], s[30:31], v[36:37] op_sel:[0,0,1] op_sel_hi:[1,0,0] neg_lo:[0,0,1] neg_hi:[0,0,1]
	v_pk_fma_f32 v[32:33], v[32:33], s[30:31], v[36:37] op_sel:[0,0,1] op_sel_hi:[1,0,0]
	v_mov_b32_e32 v36, v76
	v_mov_b32_e32 v37, v33
	v_pk_fma_f32 v[118:119], v[34:35], s[10:11], v[38:39] op_sel:[0,0,1] op_sel_hi:[1,0,0] neg_lo:[0,0,1] neg_hi:[0,0,1]
	v_pk_fma_f32 v[34:35], v[34:35], s[10:11], v[38:39] op_sel:[0,0,1] op_sel_hi:[1,0,0]
	v_pk_add_f32 v[36:37], v[36:37], v[0:1]
	v_mov_b32_e32 v38, v118
	v_mov_b32_e32 v39, v35
	v_pk_add_f32 v[36:37], v[38:39], v[36:37]
	v_pk_mul_f32 v[38:39], v[42:43], s[42:43] op_sel_hi:[1,0]
	v_mov_b32_e32 v33, v77
	v_pk_fma_f32 v[42:43], v[40:41], s[36:37], v[38:39] op_sel:[0,0,1] op_sel_hi:[1,0,0] neg_lo:[0,0,1] neg_hi:[0,0,1]
	v_pk_fma_f32 v[38:39], v[40:41], s[36:37], v[38:39] op_sel:[0,0,1] op_sel_hi:[1,0,0]
	v_mov_b32_e32 v40, v42
	v_mov_b32_e32 v41, v39
	v_pk_add_f32 v[36:37], v[40:41], v[36:37]
	v_pk_fma_f32 v[40:41], v[44:45], s[8:9], v[10:11] op_sel_hi:[1,0,1] neg_lo:[0,0,1] neg_hi:[0,0,1]
	v_pk_fma_f32 v[10:11], v[44:45], s[8:9], v[10:11] op_sel_hi:[1,0,1]
	v_mov_b32_e32 v44, v40
	v_mov_b32_e32 v45, v11
	v_pk_add_f32 v[36:37], v[44:45], v[36:37]
	v_pk_fma_f32 v[44:45], v[46:47], s[20:21], v[8:9] op_sel_hi:[1,0,1] neg_lo:[0,0,1] neg_hi:[0,0,1]
	v_pk_fma_f32 v[8:9], v[46:47], s[20:21], v[8:9] op_sel_hi:[1,0,1]
	v_mov_b32_e32 v46, v44
	v_mov_b32_e32 v47, v9
	v_pk_add_f32 v[32:33], v[32:33], v[0:1]
	v_mov_b32_e32 v35, v119
	v_pk_add_f32 v[36:37], v[46:47], v[36:37]
	v_pk_fma_f32 v[46:47], v[52:53], s[16:17], v[6:7] op_sel_hi:[1,0,1] neg_lo:[0,0,1] neg_hi:[0,0,1]
	v_pk_fma_f32 v[6:7], v[52:53], s[16:17], v[6:7] op_sel_hi:[1,0,1]
	v_pk_add_f32 v[32:33], v[34:35], v[32:33]
	v_mov_b32_e32 v39, v43
	v_mov_b32_e32 v52, v46
	v_mov_b32_e32 v53, v7
	v_pk_add_f32 v[32:33], v[38:39], v[32:33]
	v_mov_b32_e32 v11, v41
	v_pk_add_f32 v[36:37], v[52:53], v[36:37]
	v_pk_fma_f32 v[52:53], v[54:55], s[24:25], v[4:5] op_sel_hi:[1,0,1] neg_lo:[0,0,1] neg_hi:[0,0,1]
	v_pk_fma_f32 v[4:5], v[54:55], s[24:25], v[4:5] op_sel_hi:[1,0,1]
	v_pk_add_f32 v[10:11], v[10:11], v[32:33]
	v_mov_b32_e32 v9, v45
	v_mov_b32_e32 v54, v52
	v_mov_b32_e32 v55, v5
	v_pk_add_f32 v[8:9], v[8:9], v[10:11]
	v_mov_b32_e32 v7, v47
	v_pk_add_f32 v[36:37], v[54:55], v[36:37]
	v_pk_fma_f32 v[54:55], v[56:57], s[0:1], v[2:3] op_sel_hi:[1,0,1] neg_lo:[0,0,1] neg_hi:[0,0,1]
	v_pk_fma_f32 v[2:3], v[56:57], s[0:1], v[2:3] op_sel_hi:[1,0,1]
	v_pk_add_f32 v[6:7], v[6:7], v[8:9]
	v_mov_b32_e32 v5, v53
	v_mov_b32_e32 v56, v54
	v_mov_b32_e32 v57, v3
	v_pk_add_f32 v[4:5], v[4:5], v[6:7]
	v_mov_b32_e32 v3, v55
	v_pk_add_f32 v[36:37], v[56:57], v[36:37]
	v_pk_add_f32 v[2:3], v[2:3], v[4:5]
	v_mov_b32_e32 v15, v13
	ds_write2_b64 v86, v[36:37], v[2:3] offset0:8 offset1:9
	v_pk_add_f32 v[2:3], v[114:115], v[0:1]
	v_mov_b32_e32 v121, v123
	v_pk_add_f32 v[4:5], v[72:73], v[0:1]
	v_mov_b32_e32 v79, v81
	;; [unrolled: 2-line block ×21, first 2 shown]
	v_pk_add_f32 v[2:3], v[144:145], v[2:3]
	v_pk_add_f32 v[4:5], v[110:111], v[4:5]
	;; [unrolled: 1-line block ×3, first 2 shown]
	ds_write2_b64 v86, v[2:3], v[4:5] offset0:10 offset1:11
	ds_write2_b64 v86, v[0:1], v[60:61] offset0:12 offset1:13
	;; [unrolled: 1-line block ×3, first 2 shown]
	ds_write_b64 v86, v[244:245] offset:128
.LBB0_7:
	s_or_b64 exec, exec, s[44:45]
	s_movk_i32 s0, 0xf1
	v_mul_lo_u16_sdwa v0, v240, s0 dst_sel:DWORD dst_unused:UNUSED_PAD src0_sel:BYTE_0 src1_sel:DWORD
	v_lshrrev_b16_e32 v87, 12, v0
	v_mul_lo_u16_e32 v0, 17, v87
	v_sub_u16_e32 v88, v240, v0
	v_mov_b32_e32 v0, 12
	v_mul_u32_u24_sdwa v0, v88, v0 dst_sel:DWORD dst_unused:UNUSED_PAD src0_sel:BYTE_0 src1_sel:DWORD
	v_lshlrev_b32_e32 v0, 3, v0
	s_load_dwordx4 s[8:11], s[2:3], 0x0
	s_waitcnt lgkmcnt(0)
	s_barrier
	global_load_dwordx4 v[28:31], v0, s[6:7]
	global_load_dwordx4 v[24:27], v0, s[6:7] offset:16
	global_load_dwordx4 v[20:23], v0, s[6:7] offset:32
	;; [unrolled: 1-line block ×5, first 2 shown]
	v_add_lshl_u32 v86, v243, v240, 3
	v_add_u32_e32 v32, 0x800, v86
	ds_read2_b64 v[0:3], v86 offset1:85
	ds_read_b64 v[52:53], v86 offset:8160
	ds_read2_b64 v[8:11], v86 offset0:170 offset1:255
	v_add_u32_e32 v89, 0xc00, v86
	v_add_u32_e32 v91, 0x1000, v86
	;; [unrolled: 1-line block ×3, first 2 shown]
	ds_read2_b64 v[32:35], v32 offset0:84 offset1:169
	ds_read2_b64 v[36:39], v89 offset0:126 offset1:211
	;; [unrolled: 1-line block ×4, first 2 shown]
	s_mov_b32 s2, 0xbf52af12
	s_mov_b32 s0, 0x3f116cb1
	;; [unrolled: 1-line block ×13, first 2 shown]
	s_waitcnt lgkmcnt(0)
	s_barrier
	s_mov_b32 s42, 0x3f6f5d39
	s_mov_b32 s36, 0x3eedf032
	s_waitcnt vmcnt(5)
	v_pk_mul_f32 v[54:55], v[2:3], v[28:29] op_sel:[0,1]
	v_mov_b32_e32 v56, v31
	s_waitcnt vmcnt(4)
	v_pk_mul_f32 v[58:59], v[10:11], v[24:25] op_sel:[0,1]
	v_mov_b32_e32 v62, v27
	;; [unrolled: 3-line block ×6, first 2 shown]
	v_pk_fma_f32 v[80:81], v[2:3], v[28:29], v[54:55] op_sel:[0,0,1] op_sel_hi:[1,1,0] neg_lo:[0,0,1] neg_hi:[0,0,1]
	v_pk_fma_f32 v[2:3], v[2:3], v[28:29], v[54:55] op_sel:[0,0,1] op_sel_hi:[1,0,0]
	v_pk_mul_f32 v[54:55], v[8:9], v[56:57] op_sel_hi:[1,0]
	v_pk_fma_f32 v[56:57], v[10:11], v[24:25], v[58:59] op_sel:[0,0,1] op_sel_hi:[1,1,0] neg_lo:[0,0,1] neg_hi:[0,0,1]
	v_pk_fma_f32 v[10:11], v[10:11], v[24:25], v[58:59] op_sel:[0,0,1] op_sel_hi:[1,0,0]
	v_pk_mul_f32 v[58:59], v[32:33], v[62:63] op_sel_hi:[1,0]
	;; [unrolled: 3-line block ×6, first 2 shown]
	v_mov_b32_e32 v81, v3
	v_pk_fma_f32 v[78:79], v[8:9], v[30:31], v[54:55] op_sel:[0,0,1] op_sel_hi:[1,1,0] neg_lo:[0,0,1] neg_hi:[0,0,1]
	v_pk_fma_f32 v[2:3], v[8:9], v[30:31], v[54:55] op_sel:[0,0,1] op_sel_hi:[1,0,0]
	v_mov_b32_e32 v57, v11
	v_pk_fma_f32 v[54:55], v[32:33], v[26:27], v[58:59] op_sel:[0,0,1] op_sel_hi:[1,1,0] neg_lo:[0,0,1] neg_hi:[0,0,1]
	v_pk_fma_f32 v[8:9], v[32:33], v[26:27], v[58:59] op_sel:[0,0,1] op_sel_hi:[1,0,0]
	;; [unrolled: 3-line block ×3, first 2 shown]
	v_pk_fma_f32 v[64:65], v[40:41], v[18:19], v[68:69] op_sel:[0,0,1] op_sel_hi:[1,1,0] neg_lo:[0,0,1] neg_hi:[0,0,1]
	v_pk_fma_f32 v[32:33], v[40:41], v[18:19], v[68:69] op_sel:[0,0,1] op_sel_hi:[1,0,0]
	v_pk_fma_f32 v[68:69], v[44:45], v[14:15], v[72:73] op_sel:[0,0,1] op_sel_hi:[1,1,0] neg_lo:[0,0,1] neg_hi:[0,0,1]
	v_pk_fma_f32 v[34:35], v[44:45], v[14:15], v[72:73] op_sel:[0,0,1] op_sel_hi:[1,0,0]
	;; [unrolled: 2-line block ×3, first 2 shown]
	v_mov_b32_e32 v55, v9
	v_mov_b32_e32 v73, v37
	v_pk_add_f32 v[8:9], v[80:81], v[72:73] neg_lo:[0,1] neg_hi:[0,1]
	v_mov_b32_e32 v79, v3
	v_mov_b32_e32 v65, v33
	v_pk_add_f32 v[2:3], v[80:81], v[72:73]
	v_pk_mul_f32 v[32:33], v[8:9], s[2:3] op_sel:[1,0] op_sel_hi:[0,0]
	v_pk_add_f32 v[84:85], v[0:1], v[80:81]
	v_pk_fma_f32 v[80:81], v[2:3], s[0:1], v[32:33] op_sel_hi:[1,0,1]
	v_pk_fma_f32 v[94:95], v[2:3], s[0:1], v[32:33] op_sel_hi:[1,0,1] neg_lo:[0,0,1] neg_hi:[0,0,1]
	v_mov_b32_e32 v75, v47
	v_mov_b32_e32 v32, v80
	;; [unrolled: 1-line block ×4, first 2 shown]
	v_pk_add_f32 v[34:35], v[0:1], v[32:33]
	v_pk_add_f32 v[32:33], v[78:79], v[74:75] neg_lo:[0,1] neg_hi:[0,1]
	v_mov_b32_e32 v83, v11
	v_pk_add_f32 v[10:11], v[78:79], v[74:75]
	v_pk_mul_f32 v[36:37], v[32:33], s[18:19] op_sel:[1,0] op_sel_hi:[0,0]
	v_pk_fma_f32 v[96:97], v[10:11], s[16:17], v[36:37] op_sel_hi:[1,0,1]
	v_pk_fma_f32 v[98:99], v[10:11], s[16:17], v[36:37] op_sel_hi:[1,0,1] neg_lo:[0,0,1] neg_hi:[0,0,1]
	v_mov_b32_e32 v36, v96
	v_mov_b32_e32 v37, v99
	v_mov_b32_e32 v67, v39
	v_pk_add_f32 v[38:39], v[36:37], v[34:35]
	v_pk_add_f32 v[36:37], v[56:57], v[68:69] neg_lo:[0,1] neg_hi:[0,1]
	v_pk_mul_f32 v[58:59], v[8:9], s[34:35] op_sel:[1,0] op_sel_hi:[0,0]
	v_pk_add_f32 v[34:35], v[56:57], v[68:69]
	v_pk_mul_f32 v[40:41], v[36:37], s[28:29] op_sel:[1,0] op_sel_hi:[0,0]
	v_pk_fma_f32 v[112:113], v[2:3], s[30:31], v[58:59] op_sel_hi:[1,0,1]
	v_pk_fma_f32 v[114:115], v[2:3], s[30:31], v[58:59] op_sel_hi:[1,0,1] neg_lo:[0,0,1] neg_hi:[0,0,1]
	v_pk_mul_f32 v[116:117], v[32:33], s[2:3] op_sel:[1,0] op_sel_hi:[0,0]
	v_pk_fma_f32 v[100:101], v[34:35], s[24:25], v[40:41] op_sel_hi:[1,0,1]
	v_pk_fma_f32 v[102:103], v[34:35], s[24:25], v[40:41] op_sel_hi:[1,0,1] neg_lo:[0,0,1] neg_hi:[0,0,1]
	v_mov_b32_e32 v58, v112
	v_mov_b32_e32 v59, v115
	v_pk_fma_f32 v[118:119], v[10:11], s[0:1], v[116:117] op_sel_hi:[1,0,1]
	v_pk_fma_f32 v[116:117], v[10:11], s[0:1], v[116:117] op_sel_hi:[1,0,1] neg_lo:[0,0,1] neg_hi:[0,0,1]
	v_mov_b32_e32 v71, v43
	v_mov_b32_e32 v40, v100
	;; [unrolled: 1-line block ×3, first 2 shown]
	v_pk_add_f32 v[58:59], v[0:1], v[58:59]
	v_mov_b32_e32 v120, v118
	v_mov_b32_e32 v121, v117
	v_pk_add_f32 v[42:43], v[40:41], v[38:39]
	v_pk_add_f32 v[40:41], v[54:55], v[70:71] neg_lo:[0,1] neg_hi:[0,1]
	v_pk_add_f32 v[58:59], v[120:121], v[58:59]
	v_pk_mul_f32 v[120:121], v[36:37], s[40:41] op_sel:[1,0] op_sel_hi:[0,0]
	v_pk_add_f32 v[38:39], v[54:55], v[70:71]
	v_pk_mul_f32 v[44:45], v[40:41], s[38:39] op_sel:[1,0] op_sel_hi:[0,0]
	v_pk_fma_f32 v[122:123], v[34:35], s[20:21], v[120:121] op_sel_hi:[1,0,1]
	v_pk_fma_f32 v[120:121], v[34:35], s[20:21], v[120:121] op_sel_hi:[1,0,1] neg_lo:[0,0,1] neg_hi:[0,0,1]
	v_pk_fma_f32 v[104:105], v[38:39], s[26:27], v[44:45] op_sel_hi:[1,0,1]
	v_pk_fma_f32 v[106:107], v[38:39], s[26:27], v[44:45] op_sel_hi:[1,0,1] neg_lo:[0,0,1] neg_hi:[0,0,1]
	v_mov_b32_e32 v124, v122
	v_mov_b32_e32 v125, v121
	v_pk_add_f32 v[78:79], v[84:85], v[78:79]
	v_mov_b32_e32 v44, v104
	v_mov_b32_e32 v45, v107
	v_pk_add_f32 v[58:59], v[124:125], v[58:59]
	v_pk_mul_f32 v[124:125], v[40:41], s[18:19] op_sel:[1,0] op_sel_hi:[0,0]
	v_pk_add_f32 v[56:57], v[78:79], v[56:57]
	v_pk_add_f32 v[46:47], v[44:45], v[42:43]
	v_pk_add_f32 v[44:45], v[62:63], v[64:65] neg_lo:[0,1] neg_hi:[0,1]
	v_pk_fma_f32 v[126:127], v[38:39], s[16:17], v[124:125] op_sel_hi:[1,0,1]
	v_pk_fma_f32 v[124:125], v[38:39], s[16:17], v[124:125] op_sel_hi:[1,0,1] neg_lo:[0,0,1] neg_hi:[0,0,1]
	v_pk_add_f32 v[54:55], v[56:57], v[54:55]
	v_pk_add_f32 v[42:43], v[62:63], v[64:65]
	v_pk_mul_f32 v[52:53], v[44:45], s[22:23] op_sel:[1,0] op_sel_hi:[0,0]
	v_mov_b32_e32 v128, v126
	v_mov_b32_e32 v129, v125
	s_mov_b32 s34, 0xbf29c268
	v_pk_add_f32 v[54:55], v[54:55], v[62:63]
	v_pk_fma_f32 v[108:109], v[42:43], s[20:21], v[52:53] op_sel_hi:[1,0,1]
	v_pk_fma_f32 v[110:111], v[42:43], s[20:21], v[52:53] op_sel_hi:[1,0,1] neg_lo:[0,0,1] neg_hi:[0,0,1]
	v_pk_add_f32 v[58:59], v[128:129], v[58:59]
	v_pk_mul_f32 v[128:129], v[44:45], s[34:35] op_sel:[1,0] op_sel_hi:[0,0]
	v_pk_add_f32 v[54:55], v[54:55], v[82:83]
	v_mov_b32_e32 v115, v113
	v_mov_b32_e32 v52, v108
	;; [unrolled: 1-line block ×3, first 2 shown]
	v_pk_fma_f32 v[130:131], v[42:43], s[26:27], v[128:129] op_sel_hi:[1,0,1]
	v_pk_fma_f32 v[128:129], v[42:43], s[26:27], v[128:129] op_sel_hi:[1,0,1] neg_lo:[0,0,1] neg_hi:[0,0,1]
	v_pk_add_f32 v[54:55], v[54:55], v[66:67]
	v_pk_add_f32 v[56:57], v[0:1], v[114:115]
	v_mov_b32_e32 v117, v119
	v_pk_add_f32 v[76:77], v[52:53], v[46:47]
	v_pk_add_f32 v[52:53], v[82:83], v[66:67] neg_lo:[0,1] neg_hi:[0,1]
	v_mov_b32_e32 v132, v130
	v_mov_b32_e32 v133, v129
	v_pk_add_f32 v[54:55], v[54:55], v[64:65]
	v_pk_add_f32 v[56:57], v[116:117], v[56:57]
	v_mov_b32_e32 v121, v123
	v_pk_add_f32 v[46:47], v[82:83], v[66:67]
	v_pk_add_f32 v[58:59], v[132:133], v[58:59]
	v_pk_mul_f32 v[132:133], v[52:53], s[28:29] op_sel:[1,0] op_sel_hi:[0,0]
	v_pk_add_f32 v[54:55], v[54:55], v[70:71]
	v_pk_add_f32 v[56:57], v[120:121], v[56:57]
	v_mov_b32_e32 v125, v127
	v_pk_fma_f32 v[134:135], v[46:47], s[24:25], v[132:133] op_sel_hi:[1,0,1]
	v_pk_fma_f32 v[132:133], v[46:47], s[24:25], v[132:133] op_sel_hi:[1,0,1] neg_lo:[0,0,1] neg_hi:[0,0,1]
	v_mul_u32_u24_e32 v80, 0xdd, v87
	v_pk_add_f32 v[54:55], v[54:55], v[68:69]
	v_pk_add_f32 v[56:57], v[124:125], v[56:57]
	v_mov_b32_e32 v129, v131
	v_mov_b32_e32 v137, v133
	v_add_u32_sdwa v80, v80, v88 dst_sel:DWORD dst_unused:UNUSED_PAD src0_sel:DWORD src1_sel:BYTE_0
	v_pk_add_f32 v[54:55], v[54:55], v[74:75]
	v_pk_add_f32 v[56:57], v[128:129], v[56:57]
	v_mov_b32_e32 v133, v135
	v_add_lshl_u32 v153, v243, v80, 3
	v_pk_add_f32 v[54:55], v[54:55], v[72:73]
	v_pk_add_f32 v[56:57], v[132:133], v[56:57]
	ds_write2_b64 v153, v[54:55], v[56:57] offset1:17
	v_pk_mul_f32 v[56:57], v[8:9], s[40:41] op_sel:[1,0] op_sel_hi:[0,0]
	v_pk_fma_f32 v[62:63], v[2:3], s[20:21], v[56:57] op_sel_hi:[1,0,1] neg_lo:[0,0,1] neg_hi:[0,0,1]
	v_pk_fma_f32 v[56:57], v[2:3], s[20:21], v[56:57] op_sel_hi:[1,0,1]
	v_pk_mul_f32 v[66:67], v[32:33], s[28:29] op_sel:[1,0] op_sel_hi:[0,0]
	v_mov_b32_e32 v64, v62
	v_mov_b32_e32 v65, v57
	v_pk_fma_f32 v[68:69], v[10:11], s[24:25], v[66:67] op_sel_hi:[1,0,1] neg_lo:[0,0,1] neg_hi:[0,0,1]
	v_pk_fma_f32 v[66:67], v[10:11], s[24:25], v[66:67] op_sel_hi:[1,0,1]
	v_pk_add_f32 v[64:65], v[0:1], v[64:65]
	v_mov_b32_e32 v70, v68
	v_mov_b32_e32 v71, v67
	v_pk_add_f32 v[64:65], v[70:71], v[64:65]
	v_pk_mul_f32 v[70:71], v[36:37], s[42:43] op_sel:[1,0] op_sel_hi:[0,0]
	v_pk_fma_f32 v[72:73], v[34:35], s[16:17], v[70:71] op_sel_hi:[1,0,1] neg_lo:[0,0,1] neg_hi:[0,0,1]
	v_pk_fma_f32 v[70:71], v[34:35], s[16:17], v[70:71] op_sel_hi:[1,0,1]
	v_mov_b32_e32 v74, v72
	v_mov_b32_e32 v75, v71
	v_pk_add_f32 v[64:65], v[74:75], v[64:65]
	v_pk_mul_f32 v[74:75], v[40:41], s[36:37] op_sel:[1,0] op_sel_hi:[0,0]
	v_mov_b32_e32 v57, v63
	v_mov_b32_e32 v95, v81
	v_pk_fma_f32 v[78:79], v[38:39], s[30:31], v[74:75] op_sel_hi:[1,0,1] neg_lo:[0,0,1] neg_hi:[0,0,1]
	v_pk_fma_f32 v[74:75], v[38:39], s[30:31], v[74:75] op_sel_hi:[1,0,1]
	v_pk_add_f32 v[56:57], v[0:1], v[56:57]
	v_mov_b32_e32 v67, v69
	v_pk_mul_f32 v[62:63], v[44:45], s[2:3] op_sel:[1,0] op_sel_hi:[0,0]
	v_pk_add_f32 v[54:55], v[0:1], v[94:95]
	v_mov_b32_e32 v99, v97
	v_mov_b32_e32 v80, v78
	;; [unrolled: 1-line block ×3, first 2 shown]
	v_pk_add_f32 v[56:57], v[66:67], v[56:57]
	v_pk_fma_f32 v[66:67], v[42:43], s[0:1], v[62:63] op_sel_hi:[1,0,1] neg_lo:[0,0,1] neg_hi:[0,0,1]
	v_pk_fma_f32 v[62:63], v[42:43], s[0:1], v[62:63] op_sel_hi:[1,0,1]
	v_mov_b32_e32 v136, v134
	v_pk_add_f32 v[54:55], v[98:99], v[54:55]
	v_mov_b32_e32 v103, v101
	v_pk_add_f32 v[64:65], v[80:81], v[64:65]
	v_mov_b32_e32 v68, v66
	v_mov_b32_e32 v69, v63
	v_pk_add_f32 v[58:59], v[136:137], v[58:59]
	v_pk_mul_f32 v[136:137], v[52:53], s[36:37] op_sel:[1,0] op_sel_hi:[0,0]
	v_pk_add_f32 v[54:55], v[102:103], v[54:55]
	v_mov_b32_e32 v107, v105
	v_mov_b32_e32 v71, v73
	v_pk_add_f32 v[64:65], v[68:69], v[64:65]
	v_pk_mul_f32 v[68:69], v[52:53], s[34:35] op_sel:[1,0] op_sel_hi:[0,0]
	v_pk_fma_f32 v[138:139], v[46:47], s[30:31], v[136:137] op_sel_hi:[1,0,1]
	v_pk_fma_f32 v[136:137], v[46:47], s[30:31], v[136:137] op_sel_hi:[1,0,1] neg_lo:[0,0,1] neg_hi:[0,0,1]
	v_pk_add_f32 v[54:55], v[106:107], v[54:55]
	v_mov_b32_e32 v111, v109
	v_pk_add_f32 v[56:57], v[70:71], v[56:57]
	v_pk_fma_f32 v[70:71], v[46:47], s[26:27], v[68:69] op_sel_hi:[1,0,1] neg_lo:[0,0,1] neg_hi:[0,0,1]
	v_pk_fma_f32 v[68:69], v[46:47], s[26:27], v[68:69] op_sel_hi:[1,0,1]
	v_mov_b32_e32 v141, v137
	v_pk_add_f32 v[54:55], v[110:111], v[54:55]
	v_mov_b32_e32 v137, v139
	v_mov_b32_e32 v75, v79
	;; [unrolled: 1-line block ×4, first 2 shown]
	v_pk_add_f32 v[54:55], v[136:137], v[54:55]
	v_pk_add_f32 v[56:57], v[74:75], v[56:57]
	;; [unrolled: 1-line block ×3, first 2 shown]
	v_mov_b32_e32 v63, v67
	v_pk_add_f32 v[56:57], v[62:63], v[56:57]
	v_mov_b32_e32 v69, v71
	ds_write2_b64 v153, v[54:55], v[64:65] offset0:34 offset1:51
	v_pk_mul_f32 v[54:55], v[8:9], s[18:19] op_sel:[1,0] op_sel_hi:[0,0]
	v_pk_add_f32 v[74:75], v[68:69], v[56:57]
	v_pk_fma_f32 v[56:57], v[2:3], s[16:17], v[54:55] op_sel_hi:[1,0,1] neg_lo:[0,0,1] neg_hi:[0,0,1]
	v_pk_fma_f32 v[54:55], v[2:3], s[16:17], v[54:55] op_sel_hi:[1,0,1]
	v_pk_mul_f32 v[64:65], v[32:33], s[38:39] op_sel:[1,0] op_sel_hi:[0,0]
	v_mov_b32_e32 v62, v56
	v_mov_b32_e32 v63, v55
	v_pk_fma_f32 v[66:67], v[10:11], s[26:27], v[64:65] op_sel_hi:[1,0,1] neg_lo:[0,0,1] neg_hi:[0,0,1]
	v_pk_fma_f32 v[64:65], v[10:11], s[26:27], v[64:65] op_sel_hi:[1,0,1]
	v_pk_add_f32 v[62:63], v[0:1], v[62:63]
	v_mov_b32_e32 v68, v66
	v_mov_b32_e32 v69, v65
	v_pk_add_f32 v[62:63], v[68:69], v[62:63]
	v_pk_mul_f32 v[68:69], v[36:37], s[36:37] op_sel:[1,0] op_sel_hi:[0,0]
	v_pk_fma_f32 v[70:71], v[34:35], s[30:31], v[68:69] op_sel_hi:[1,0,1] neg_lo:[0,0,1] neg_hi:[0,0,1]
	v_pk_fma_f32 v[68:69], v[34:35], s[30:31], v[68:69] op_sel_hi:[1,0,1]
	v_mov_b32_e32 v72, v70
	v_mov_b32_e32 v73, v69
	v_pk_add_f32 v[62:63], v[72:73], v[62:63]
	v_pk_mul_f32 v[72:73], v[40:41], s[40:41] op_sel:[1,0] op_sel_hi:[0,0]
	v_pk_fma_f32 v[78:79], v[38:39], s[20:21], v[72:73] op_sel_hi:[1,0,1] neg_lo:[0,0,1] neg_hi:[0,0,1]
	v_pk_fma_f32 v[72:73], v[38:39], s[20:21], v[72:73] op_sel_hi:[1,0,1]
	v_mov_b32_e32 v80, v78
	v_mov_b32_e32 v81, v73
	s_mov_b32 s38, 0x3e750f2a
	v_pk_add_f32 v[62:63], v[80:81], v[62:63]
	v_pk_mul_f32 v[80:81], v[44:45], s[38:39] op_sel:[1,0] op_sel_hi:[0,0]
	v_pk_fma_f32 v[82:83], v[42:43], s[24:25], v[80:81] op_sel_hi:[1,0,1] neg_lo:[0,0,1] neg_hi:[0,0,1]
	v_pk_fma_f32 v[80:81], v[42:43], s[24:25], v[80:81] op_sel_hi:[1,0,1]
	v_mov_b32_e32 v84, v82
	v_mov_b32_e32 v85, v81
	s_mov_b32 s40, 0x3f52af12
	v_pk_add_f32 v[62:63], v[84:85], v[62:63]
	v_pk_mul_f32 v[84:85], v[52:53], s[40:41] op_sel:[1,0] op_sel_hi:[0,0]
	v_pk_fma_f32 v[94:95], v[46:47], s[0:1], v[84:85] op_sel_hi:[1,0,1] neg_lo:[0,0,1] neg_hi:[0,0,1]
	v_pk_fma_f32 v[84:85], v[46:47], s[0:1], v[84:85] op_sel_hi:[1,0,1]
	v_mov_b32_e32 v96, v94
	v_mov_b32_e32 v97, v85
	v_pk_add_f32 v[62:63], v[96:97], v[62:63]
	v_pk_mul_f32 v[96:97], v[8:9], s[34:35] op_sel:[1,0] op_sel_hi:[0,0]
	v_pk_fma_f32 v[98:99], v[2:3], s[26:27], v[96:97] op_sel_hi:[1,0,1] neg_lo:[0,0,1] neg_hi:[0,0,1]
	v_pk_fma_f32 v[96:97], v[2:3], s[26:27], v[96:97] op_sel_hi:[1,0,1]
	v_pk_mul_f32 v[102:103], v[32:33], s[22:23] op_sel:[1,0] op_sel_hi:[0,0]
	v_mov_b32_e32 v100, v98
	v_mov_b32_e32 v101, v97
	v_pk_fma_f32 v[104:105], v[10:11], s[20:21], v[102:103] op_sel_hi:[1,0,1] neg_lo:[0,0,1] neg_hi:[0,0,1]
	v_pk_fma_f32 v[102:103], v[10:11], s[20:21], v[102:103] op_sel_hi:[1,0,1]
	v_pk_add_f32 v[100:101], v[0:1], v[100:101]
	v_mov_b32_e32 v106, v104
	v_mov_b32_e32 v107, v103
	v_pk_add_f32 v[100:101], v[106:107], v[100:101]
	v_pk_mul_f32 v[106:107], v[36:37], s[2:3] op_sel:[1,0] op_sel_hi:[0,0]
	v_pk_fma_f32 v[108:109], v[34:35], s[0:1], v[106:107] op_sel_hi:[1,0,1] neg_lo:[0,0,1] neg_hi:[0,0,1]
	v_pk_fma_f32 v[106:107], v[34:35], s[0:1], v[106:107] op_sel_hi:[1,0,1]
	v_mov_b32_e32 v110, v108
	v_mov_b32_e32 v111, v107
	v_pk_add_f32 v[100:101], v[110:111], v[100:101]
	v_pk_mul_f32 v[110:111], v[40:41], s[38:39] op_sel:[1,0] op_sel_hi:[0,0]
	v_pk_fma_f32 v[112:113], v[38:39], s[24:25], v[110:111] op_sel_hi:[1,0,1] neg_lo:[0,0,1] neg_hi:[0,0,1]
	v_pk_fma_f32 v[110:111], v[38:39], s[24:25], v[110:111] op_sel_hi:[1,0,1]
	;; [unrolled: 6-line block ×4, first 2 shown]
	v_mov_b32_e32 v122, v120
	v_mov_b32_e32 v123, v119
	v_pk_add_f32 v[100:101], v[122:123], v[100:101]
	v_pk_mul_f32 v[8:9], v[8:9], s[28:29] op_sel:[1,0] op_sel_hi:[0,0]
	ds_write2_b64 v153, v[62:63], v[100:101] offset0:68 offset1:85
	v_pk_fma_f32 v[62:63], v[2:3], s[24:25], v[8:9] op_sel_hi:[1,0,1] neg_lo:[0,0,1] neg_hi:[0,0,1]
	v_pk_fma_f32 v[2:3], v[2:3], s[24:25], v[8:9] op_sel_hi:[1,0,1]
	v_pk_mul_f32 v[32:33], v[32:33], s[36:37] op_sel:[1,0] op_sel_hi:[0,0]
	v_mov_b32_e32 v8, v62
	v_mov_b32_e32 v9, v3
	v_pk_fma_f32 v[100:101], v[10:11], s[30:31], v[32:33] op_sel_hi:[1,0,1] neg_lo:[0,0,1] neg_hi:[0,0,1]
	v_pk_fma_f32 v[10:11], v[10:11], s[30:31], v[32:33] op_sel_hi:[1,0,1]
	v_pk_add_f32 v[8:9], v[0:1], v[8:9]
	v_mov_b32_e32 v32, v100
	v_mov_b32_e32 v33, v11
	v_pk_add_f32 v[8:9], v[32:33], v[8:9]
	v_pk_mul_f32 v[32:33], v[36:37], s[34:35] op_sel:[1,0] op_sel_hi:[0,0]
	v_pk_fma_f32 v[36:37], v[34:35], s[26:27], v[32:33] op_sel_hi:[1,0,1] neg_lo:[0,0,1] neg_hi:[0,0,1]
	v_pk_fma_f32 v[32:33], v[34:35], s[26:27], v[32:33] op_sel_hi:[1,0,1]
	v_mov_b32_e32 v34, v36
	v_mov_b32_e32 v35, v33
	v_pk_add_f32 v[8:9], v[34:35], v[8:9]
	v_pk_mul_f32 v[34:35], v[40:41], s[40:41] op_sel:[1,0] op_sel_hi:[0,0]
	v_pk_fma_f32 v[40:41], v[38:39], s[0:1], v[34:35] op_sel_hi:[1,0,1] neg_lo:[0,0,1] neg_hi:[0,0,1]
	v_pk_fma_f32 v[34:35], v[38:39], s[0:1], v[34:35] op_sel_hi:[1,0,1]
	v_mov_b32_e32 v38, v40
	v_mov_b32_e32 v39, v35
	v_pk_add_f32 v[8:9], v[38:39], v[8:9]
	v_pk_mul_f32 v[38:39], v[44:45], s[18:19] op_sel:[1,0] op_sel_hi:[0,0]
	v_mov_b32_e32 v3, v63
	v_pk_fma_f32 v[44:45], v[42:43], s[16:17], v[38:39] op_sel_hi:[1,0,1] neg_lo:[0,0,1] neg_hi:[0,0,1]
	v_pk_fma_f32 v[38:39], v[42:43], s[16:17], v[38:39] op_sel_hi:[1,0,1]
	v_pk_add_f32 v[2:3], v[0:1], v[2:3]
	v_mov_b32_e32 v11, v101
	v_mov_b32_e32 v42, v44
	;; [unrolled: 1-line block ×3, first 2 shown]
	v_pk_add_f32 v[2:3], v[10:11], v[2:3]
	v_mov_b32_e32 v33, v37
	v_pk_add_f32 v[8:9], v[42:43], v[8:9]
	v_pk_mul_f32 v[42:43], v[52:53], s[22:23] op_sel:[1,0] op_sel_hi:[0,0]
	v_pk_add_f32 v[2:3], v[32:33], v[2:3]
	v_mov_b32_e32 v35, v41
	v_pk_fma_f32 v[52:53], v[46:47], s[20:21], v[42:43] op_sel_hi:[1,0,1] neg_lo:[0,0,1] neg_hi:[0,0,1]
	v_pk_fma_f32 v[42:43], v[46:47], s[20:21], v[42:43] op_sel_hi:[1,0,1]
	v_pk_add_f32 v[2:3], v[34:35], v[2:3]
	v_mov_b32_e32 v39, v45
	v_mov_b32_e32 v46, v52
	;; [unrolled: 1-line block ×3, first 2 shown]
	v_pk_add_f32 v[2:3], v[38:39], v[2:3]
	v_mov_b32_e32 v43, v53
	v_pk_add_f32 v[8:9], v[46:47], v[8:9]
	v_pk_add_f32 v[2:3], v[42:43], v[2:3]
	v_mov_b32_e32 v97, v99
	v_mov_b32_e32 v55, v57
	ds_write2_b64 v153, v[8:9], v[2:3] offset0:102 offset1:119
	v_pk_add_f32 v[2:3], v[0:1], v[96:97]
	v_mov_b32_e32 v103, v105
	v_pk_add_f32 v[0:1], v[0:1], v[54:55]
	v_mov_b32_e32 v65, v67
	;; [unrolled: 2-line block ×10, first 2 shown]
	v_mov_b32_e32 v140, v138
	v_pk_add_f32 v[2:3], v[118:119], v[2:3]
	v_pk_add_f32 v[0:1], v[84:85], v[0:1]
	;; [unrolled: 1-line block ×3, first 2 shown]
	ds_write2_b64 v153, v[2:3], v[0:1] offset0:136 offset1:153
	ds_write2_b64 v153, v[74:75], v[76:77] offset0:170 offset1:187
	ds_write_b64 v153, v[58:59] offset:1632
	v_add_u32_e32 v0, 0x400, v86
	s_waitcnt lgkmcnt(0)
	s_barrier
	ds_read2_b64 v[68:71], v86 offset1:85
	ds_read2_b64 v[82:85], v0 offset0:93 offset1:178
	ds_read2_b64 v[62:65], v89 offset0:58 offset1:143
	;; [unrolled: 1-line block ×4, first 2 shown]
	v_cmp_gt_u16_e64 s[2:3], 51, v240
	s_and_saveexec_b64 s[0:1], s[2:3]
	s_cbranch_execz .LBB0_9
; %bb.8:
	v_add_u32_e32 v0, 0x500, v86
	ds_read2_b64 v[74:77], v0 offset0:10 offset1:231
	v_add_u32_e32 v0, 0x1300, v86
	ds_read2_b64 v[58:61], v0 offset0:4 offset1:225
	ds_read_b64 v[48:49], v86 offset:8432
.LBB0_9:
	s_or_b64 exec, exec, s[0:1]
	v_lshlrev_b32_e32 v0, 5, v240
	global_load_dwordx4 v[36:39], v0, s[6:7] offset:1632
	global_load_dwordx4 v[32:35], v0, s[6:7] offset:1648
	v_add_u32_e32 v0, 0xaa0, v0
	global_load_dwordx4 v[44:47], v0, s[6:7] offset:1632
	global_load_dwordx4 v[40:43], v0, s[6:7] offset:1648
	s_movk_i32 s18, 0xffcd
	s_mov_b64 s[16:17], 0xaa
	s_mov_b32 s19, -1
	v_lshl_add_u64 v[0:1], v[240:241], 0, s[16:17]
	v_lshl_add_u64 v[2:3], v[240:241], 0, s[18:19]
	v_cndmask_b32_e64 v1, v3, v1, s[2:3]
	v_cndmask_b32_e64 v0, v2, v0, s[2:3]
	v_lshlrev_b64 v[0:1], 5, v[0:1]
	v_lshl_add_u64 v[56:57], s[6:7], 0, v[0:1]
	global_load_dwordx4 v[0:3], v[56:57], off offset:1648
	global_load_dwordx4 v[8:11], v[56:57], off offset:1632
	s_mov_b32 s0, 0x3f737871
	s_mov_b32 s16, 0x3f167918
	;; [unrolled: 1-line block ×3, first 2 shown]
	v_lshl_add_u32 v154, v240, 3, v90
	v_add_u32_e32 v155, v238, v90
	s_waitcnt vmcnt(5) lgkmcnt(3)
	v_pk_mul_f32 v[56:57], v[82:83], v[36:37] op_sel:[0,1]
	s_waitcnt vmcnt(4) lgkmcnt(1)
	v_pk_mul_f32 v[72:73], v[78:79], v[32:33] op_sel:[0,1]
	v_mov_b32_e32 v66, v39
	v_mov_b32_e32 v94, v35
	v_pk_fma_f32 v[96:97], v[82:83], v[36:37], v[56:57] op_sel:[0,0,1] op_sel_hi:[1,1,0] neg_lo:[0,0,1] neg_hi:[0,0,1]
	v_pk_fma_f32 v[56:57], v[82:83], v[36:37], v[56:57] op_sel:[0,0,1] op_sel_hi:[1,0,0]
	v_pk_fma_f32 v[82:83], v[78:79], v[32:33], v[72:73] op_sel:[0,0,1] op_sel_hi:[1,1,0] neg_lo:[0,0,1] neg_hi:[0,0,1]
	v_pk_fma_f32 v[72:73], v[78:79], v[32:33], v[72:73] op_sel:[0,0,1] op_sel_hi:[1,0,0]
	v_pk_mul_f32 v[66:67], v[62:63], v[66:67] op_sel_hi:[1,0]
	s_waitcnt lgkmcnt(0)
	v_pk_mul_f32 v[78:79], v[52:53], v[94:95] op_sel_hi:[1,0]
	s_waitcnt vmcnt(3)
	v_pk_mul_f32 v[94:95], v[84:85], v[44:45] op_sel:[0,1]
	v_mov_b32_e32 v56, v47
	s_waitcnt vmcnt(2)
	v_pk_mul_f32 v[98:99], v[80:81], v[40:41] op_sel:[0,1]
	v_mov_b32_e32 v72, v43
	v_mov_b32_e32 v97, v57
	v_pk_fma_f32 v[100:101], v[62:63], v[38:39], v[66:67] op_sel:[0,0,1] op_sel_hi:[1,1,0] neg_lo:[0,0,1] neg_hi:[0,0,1]
	v_pk_fma_f32 v[62:63], v[62:63], v[38:39], v[66:67] op_sel:[0,0,1] op_sel_hi:[1,0,0]
	v_mov_b32_e32 v83, v73
	v_pk_fma_f32 v[66:67], v[52:53], v[34:35], v[78:79] op_sel:[0,0,1] op_sel_hi:[1,1,0] neg_lo:[0,0,1] neg_hi:[0,0,1]
	v_pk_fma_f32 v[52:53], v[52:53], v[34:35], v[78:79] op_sel:[0,0,1] op_sel_hi:[1,0,0]
	v_pk_fma_f32 v[78:79], v[84:85], v[44:45], v[94:95] op_sel:[0,0,1] op_sel_hi:[1,1,0] neg_lo:[0,0,1] neg_hi:[0,0,1]
	v_pk_fma_f32 v[84:85], v[84:85], v[44:45], v[94:95] op_sel:[0,0,1] op_sel_hi:[1,0,0]
	v_pk_mul_f32 v[56:57], v[64:65], v[56:57] op_sel_hi:[1,0]
	v_pk_fma_f32 v[94:95], v[80:81], v[40:41], v[98:99] op_sel:[0,0,1] op_sel_hi:[1,1,0] neg_lo:[0,0,1] neg_hi:[0,0,1]
	v_pk_fma_f32 v[80:81], v[80:81], v[40:41], v[98:99] op_sel:[0,0,1] op_sel_hi:[1,0,0]
	v_pk_mul_f32 v[72:73], v[54:55], v[72:73] op_sel_hi:[1,0]
	v_mov_b32_e32 v101, v63
	v_mov_b32_e32 v67, v53
	v_pk_fma_f32 v[52:53], v[64:65], v[46:47], v[56:57] op_sel:[0,0,1] op_sel_hi:[1,1,0] neg_lo:[0,0,1] neg_hi:[0,0,1]
	v_pk_fma_f32 v[56:57], v[64:65], v[46:47], v[56:57] op_sel:[0,0,1] op_sel_hi:[1,0,0]
	v_mov_b32_e32 v95, v81
	v_pk_fma_f32 v[80:81], v[54:55], v[42:43], v[72:73] op_sel:[0,0,1] op_sel_hi:[1,1,0] neg_lo:[0,0,1] neg_hi:[0,0,1]
	v_pk_fma_f32 v[54:55], v[54:55], v[42:43], v[72:73] op_sel:[0,0,1] op_sel_hi:[1,0,0]
	v_pk_add_f32 v[62:63], v[68:69], v[96:97]
	v_mov_b32_e32 v53, v57
	v_mov_b32_e32 v81, v55
	v_pk_add_f32 v[54:55], v[62:63], v[100:101]
	v_pk_add_f32 v[56:57], v[100:101], v[82:83]
	;; [unrolled: 1-line block ×3, first 2 shown]
	v_mov_b32_e32 v79, v85
	v_pk_add_f32 v[62:63], v[96:97], v[66:67] neg_lo:[0,1] neg_hi:[0,1]
	v_pk_add_f32 v[64:65], v[100:101], v[82:83] neg_lo:[0,1] neg_hi:[0,1]
	;; [unrolled: 1-line block ×4, first 2 shown]
	v_pk_add_f32 v[54:55], v[54:55], v[82:83]
	v_pk_fma_f32 v[56:57], v[56:57], 0.5, v[68:69] op_sel_hi:[1,0,1] neg_lo:[1,0,0] neg_hi:[1,0,0]
	v_pk_fma_f32 v[68:69], v[98:99], 0.5, v[68:69] op_sel_hi:[1,0,1] neg_lo:[1,0,0] neg_hi:[1,0,0]
	v_pk_add_f32 v[96:97], v[100:101], v[96:97] neg_lo:[0,1] neg_hi:[0,1]
	v_pk_add_f32 v[100:101], v[82:83], v[66:67] neg_lo:[0,1] neg_hi:[0,1]
	v_pk_add_f32 v[72:73], v[72:73], v[84:85]
	v_pk_add_f32 v[54:55], v[54:55], v[66:67]
	v_pk_fma_f32 v[66:67], v[62:63], s[0:1], v[56:57] op_sel:[1,0,0] op_sel_hi:[0,0,1]
	v_pk_fma_f32 v[56:57], v[62:63], s[0:1], v[56:57] op_sel:[1,0,0] op_sel_hi:[0,0,1] neg_lo:[1,0,0] neg_hi:[1,0,0]
	v_pk_fma_f32 v[84:85], v[64:65], s[0:1], v[68:69] op_sel:[1,0,0] op_sel_hi:[0,0,1] neg_lo:[1,0,0] neg_hi:[1,0,0]
	v_pk_fma_f32 v[68:69], v[64:65], s[0:1], v[68:69] op_sel:[1,0,0] op_sel_hi:[0,0,1]
	v_pk_add_f32 v[82:83], v[96:97], v[100:101]
	v_pk_fma_f32 v[96:97], v[64:65], s[16:17], v[56:57] op_sel:[1,0,0] op_sel_hi:[0,0,1] neg_lo:[1,0,0] neg_hi:[1,0,0]
	v_pk_fma_f32 v[56:57], v[64:65], s[16:17], v[66:67] op_sel:[1,0,0] op_sel_hi:[0,0,1]
	v_pk_fma_f32 v[64:65], v[62:63], s[16:17], v[68:69] op_sel:[1,0,0] op_sel_hi:[0,0,1] neg_lo:[1,0,0] neg_hi:[1,0,0]
	v_pk_fma_f32 v[62:63], v[62:63], s[16:17], v[84:85] op_sel:[1,0,0] op_sel_hi:[0,0,1]
	v_mov_b32_e32 v66, v56
	v_mov_b32_e32 v67, v97
	;; [unrolled: 1-line block ×6, first 2 shown]
	v_pk_fma_f32 v[56:57], v[72:73], s[6:7], v[66:67] op_sel_hi:[1,0,1]
	v_pk_fma_f32 v[66:67], v[72:73], s[6:7], v[96:97] op_sel_hi:[1,0,1]
	;; [unrolled: 1-line block ×4, first 2 shown]
	v_pk_add_f32 v[72:73], v[78:79], v[52:53] neg_lo:[0,1] neg_hi:[0,1]
	v_pk_add_f32 v[82:83], v[80:81], v[94:95] neg_lo:[0,1] neg_hi:[0,1]
	v_pk_add_f32 v[68:69], v[70:71], v[78:79]
	v_pk_add_f32 v[72:73], v[72:73], v[82:83]
	s_waitcnt vmcnt(0)
	v_pk_mul_f32 v[82:83], v[76:77], v[8:9] op_sel:[1,0]
	v_pk_add_f32 v[68:69], v[68:69], v[52:53]
	v_pk_fma_f32 v[84:85], v[76:77], v[8:9], v[82:83] op_sel:[0,0,1] op_sel_hi:[1,1,0] neg_lo:[0,0,1] neg_hi:[0,0,1]
	v_pk_fma_f32 v[76:77], v[76:77], v[8:9], v[82:83] op_sel:[0,0,1] op_sel_hi:[0,1,0]
	v_mov_b32_e32 v85, v77
	v_pk_mul_f32 v[76:77], v[58:59], v[10:11] op_sel:[1,0]
	v_pk_add_f32 v[100:101], v[52:53], v[94:95] neg_lo:[0,1] neg_hi:[0,1]
	v_pk_fma_f32 v[82:83], v[58:59], v[10:11], v[76:77] op_sel:[0,0,1] op_sel_hi:[1,1,0] neg_lo:[0,0,1] neg_hi:[0,0,1]
	v_pk_fma_f32 v[58:59], v[58:59], v[10:11], v[76:77] op_sel:[0,0,1] op_sel_hi:[0,1,0]
	v_mov_b32_e32 v83, v59
	v_pk_mul_f32 v[58:59], v[60:61], v[0:1] op_sel:[1,0]
	v_pk_add_f32 v[68:69], v[68:69], v[94:95]
	v_pk_fma_f32 v[76:77], v[60:61], v[0:1], v[58:59] op_sel:[0,0,1] op_sel_hi:[1,1,0] neg_lo:[0,0,1] neg_hi:[0,0,1]
	v_pk_fma_f32 v[58:59], v[60:61], v[0:1], v[58:59] op_sel:[0,0,1] op_sel_hi:[0,1,0]
	v_mov_b32_e32 v77, v59
	v_pk_mul_f32 v[58:59], v[48:49], v[2:3] op_sel:[1,0]
	v_pk_mul_f32 v[102:103], v[100:101], s[16:17] op_sel_hi:[1,0]
	v_pk_fma_f32 v[96:97], v[48:49], v[2:3], v[58:59] op_sel:[0,0,1] op_sel_hi:[1,1,0] neg_lo:[0,0,1] neg_hi:[0,0,1]
	v_pk_fma_f32 v[48:49], v[48:49], v[2:3], v[58:59] op_sel:[0,0,1] op_sel_hi:[0,1,0]
	v_mov_b32_e32 v97, v49
	v_pk_add_f32 v[48:49], v[52:53], v[94:95]
	v_pk_add_f32 v[58:59], v[78:79], v[80:81] neg_lo:[0,1] neg_hi:[0,1]
	v_pk_fma_f32 v[48:49], v[48:49], 0.5, v[70:71] op_sel_hi:[1,0,1] neg_lo:[1,0,0] neg_hi:[1,0,0]
	v_pk_mul_f32 v[60:61], v[58:59], s[0:1] op_sel_hi:[1,0]
	v_pk_add_f32 v[52:53], v[52:53], v[78:79] neg_lo:[0,1] neg_hi:[0,1]
	v_pk_add_f32 v[98:99], v[48:49], v[60:61] op_sel:[0,1] op_sel_hi:[1,0] neg_lo:[0,1] neg_hi:[0,1]
	v_pk_add_f32 v[48:49], v[48:49], v[60:61] op_sel:[0,1] op_sel_hi:[1,0]
	v_pk_add_f32 v[60:61], v[78:79], v[80:81]
	v_pk_mul_f32 v[58:59], v[58:59], s[16:17] op_sel_hi:[1,0]
	v_pk_fma_f32 v[60:61], v[60:61], 0.5, v[70:71] op_sel_hi:[1,0,1] neg_lo:[1,0,0] neg_hi:[1,0,0]
	v_pk_add_f32 v[70:71], v[94:95], v[80:81] neg_lo:[0,1] neg_hi:[0,1]
	v_pk_add_f32 v[68:69], v[68:69], v[80:81]
	v_pk_add_f32 v[52:53], v[52:53], v[70:71]
	v_pk_mul_f32 v[70:71], v[100:101], s[0:1] op_sel_hi:[1,0]
	v_pk_add_f32 v[98:99], v[98:99], v[102:103] op_sel:[0,1] op_sel_hi:[1,0] neg_lo:[0,1] neg_hi:[0,1]
	v_pk_add_f32 v[78:79], v[70:71], v[60:61] op_sel:[1,0] op_sel_hi:[0,1]
	v_pk_add_f32 v[60:61], v[60:61], v[70:71] op_sel:[0,1] op_sel_hi:[1,0] neg_lo:[0,1] neg_hi:[0,1]
	v_pk_add_f32 v[78:79], v[78:79], v[58:59] op_sel:[0,1] op_sel_hi:[1,0] neg_lo:[0,1] neg_hi:[0,1]
	v_pk_add_f32 v[70:71], v[58:59], v[60:61] op_sel:[1,0] op_sel_hi:[0,1]
	v_mov_b32_e32 v58, v70
	v_mov_b32_e32 v59, v79
	;; [unrolled: 1-line block ×3, first 2 shown]
	v_pk_fma_f32 v[60:61], v[52:53], s[6:7], v[58:59] op_sel_hi:[1,0,1]
	v_pk_fma_f32 v[70:71], v[52:53], s[6:7], v[78:79] op_sel_hi:[1,0,1]
	v_pk_add_f32 v[52:53], v[82:83], v[76:77]
	v_pk_add_f32 v[78:79], v[84:85], v[96:97] neg_lo:[0,1] neg_hi:[0,1]
	v_pk_fma_f32 v[52:53], v[52:53], 0.5, v[74:75] op_sel_hi:[1,0,1] neg_lo:[1,0,0] neg_hi:[1,0,0]
	v_pk_add_f32 v[48:49], v[102:103], v[48:49] op_sel:[1,0] op_sel_hi:[0,1]
	v_pk_fma_f32 v[80:81], v[78:79], s[0:1], v[52:53] op_sel:[1,0,0] op_sel_hi:[0,0,1]
	v_pk_fma_f32 v[52:53], v[78:79], s[0:1], v[52:53] op_sel:[1,0,0] op_sel_hi:[0,0,1] neg_lo:[1,0,0] neg_hi:[1,0,0]
	v_pk_add_f32 v[94:95], v[82:83], v[76:77] neg_lo:[0,1] neg_hi:[0,1]
	v_mov_b32_e32 v102, v48
	v_mov_b32_e32 v103, v99
	;; [unrolled: 1-line block ×3, first 2 shown]
	v_pk_fma_f32 v[52:53], v[94:95], s[16:17], v[52:53] op_sel:[1,0,0] op_sel_hi:[0,0,1] neg_lo:[1,0,0] neg_hi:[1,0,0]
	v_pk_fma_f32 v[80:81], v[94:95], s[16:17], v[80:81] op_sel:[1,0,0] op_sel_hi:[0,0,1]
	v_pk_fma_f32 v[58:59], v[72:73], s[6:7], v[102:103] op_sel_hi:[1,0,1]
	v_pk_fma_f32 v[72:73], v[72:73], s[6:7], v[98:99] op_sel_hi:[1,0,1]
	v_mov_b32_e32 v98, v80
	v_mov_b32_e32 v99, v53
	;; [unrolled: 1-line block ×3, first 2 shown]
	v_pk_add_f32 v[80:81], v[84:85], v[96:97]
	v_pk_add_f32 v[48:49], v[74:75], v[84:85]
	v_pk_fma_f32 v[74:75], v[80:81], 0.5, v[74:75] op_sel_hi:[1,0,1] neg_lo:[1,0,0] neg_hi:[1,0,0]
	v_pk_add_f32 v[48:49], v[48:49], v[82:83]
	v_pk_add_f32 v[100:101], v[84:85], v[82:83] neg_lo:[0,1] neg_hi:[0,1]
	v_pk_add_f32 v[102:103], v[96:97], v[76:77] neg_lo:[0,1] neg_hi:[0,1]
	v_pk_fma_f32 v[80:81], v[94:95], s[0:1], v[74:75] op_sel:[1,0,0] op_sel_hi:[0,0,1] neg_lo:[1,0,0] neg_hi:[1,0,0]
	v_pk_fma_f32 v[74:75], v[94:95], s[0:1], v[74:75] op_sel:[1,0,0] op_sel_hi:[0,0,1]
	v_pk_add_f32 v[48:49], v[48:49], v[76:77]
	v_pk_add_f32 v[100:101], v[100:101], v[102:103]
	v_pk_fma_f32 v[94:95], v[78:79], s[16:17], v[74:75] op_sel:[1,0,0] op_sel_hi:[0,0,1] neg_lo:[1,0,0] neg_hi:[1,0,0]
	v_pk_fma_f32 v[74:75], v[78:79], s[16:17], v[80:81] op_sel:[1,0,0] op_sel_hi:[0,0,1]
	v_mov_b32_e32 v78, v74
	v_mov_b32_e32 v79, v95
	;; [unrolled: 1-line block ×3, first 2 shown]
	v_pk_add_f32 v[74:75], v[48:49], v[96:97]
	v_pk_fma_f32 v[48:49], v[100:101], s[6:7], v[52:53] op_sel_hi:[1,0,1]
	v_add_u32_e32 v52, 0x600, v154
	v_pk_add_f32 v[80:81], v[82:83], v[84:85] neg_lo:[0,1] neg_hi:[0,1]
	v_pk_add_f32 v[76:77], v[76:77], v[96:97] neg_lo:[0,1] neg_hi:[0,1]
	ds_write2_b64 v52, v[56:57], v[62:63] offset0:29 offset1:250
	v_add_u32_e32 v52, 0x1400, v154
	v_pk_add_f32 v[80:81], v[80:81], v[76:77]
	ds_write2_b64 v52, v[64:65], v[66:67] offset0:23 offset1:244
	v_add_u32_e32 v52, 0x900, v155
	v_pk_fma_f32 v[76:77], v[100:101], s[6:7], v[98:99] op_sel_hi:[1,0,1]
	v_pk_fma_f32 v[78:79], v[80:81], s[6:7], v[78:79] op_sel_hi:[1,0,1]
	v_pk_fma_f32 v[80:81], v[80:81], s[6:7], v[94:95] op_sel_hi:[1,0,1]
	ds_write2_b64 v154, v[54:55], v[68:69] offset1:85
	ds_write2_b64 v52, v[58:59], v[60:61] offset0:18 offset1:239
	v_add_u32_e32 v52, 0x1700, v155
	ds_write2_b64 v52, v[70:71], v[72:73] offset0:12 offset1:233
	s_and_saveexec_b64 s[0:1], s[2:3]
	s_cbranch_execz .LBB0_11
; %bb.10:
	v_add_u32_e32 v52, 0x500, v154
	ds_write2_b64 v52, v[74:75], v[76:77] offset0:10 offset1:231
	v_add_u32_e32 v52, 0x1300, v154
	ds_write2_b64 v52, v[78:79], v[80:81] offset0:4 offset1:225
	ds_write_b64 v154, v[48:49] offset:8432
.LBB0_11:
	s_or_b64 exec, exec, s[0:1]
	s_waitcnt lgkmcnt(0)
	s_barrier
	s_and_saveexec_b64 s[6:7], s[4:5]
	s_cbranch_execz .LBB0_13
; %bb.12:
	v_mov_b32_e32 v239, 0
	v_lshl_add_u64 v[52:53], s[12:13], 0, v[238:239]
	s_mov_b64 s[0:1], 0x2288
	v_lshl_add_u64 v[82:83], v[52:53], 0, s[0:1]
	s_movk_i32 s0, 0x3000
	v_add_co_u32_e64 v94, s[0:1], s0, v52
	global_load_dwordx2 v[114:115], v[82:83], off offset:520
	global_load_dwordx2 v[116:117], v[82:83], off offset:1040
	global_load_dwordx2 v[118:119], v[82:83], off offset:1560
	global_load_dwordx2 v[120:121], v[82:83], off offset:2080
	global_load_dwordx2 v[122:123], v[82:83], off offset:2600
	global_load_dwordx2 v[124:125], v[82:83], off offset:3120
	v_addc_co_u32_e64 v95, s[0:1], 0, v53, s[0:1]
	global_load_dwordx2 v[126:127], v[94:95], off offset:712
	v_add_co_u32_e32 v84, vcc, 0x2000, v52
	s_movk_i32 s0, 0x4000
	s_nop 0
	v_addc_co_u32_e32 v85, vcc, 0, v53, vcc
	global_load_dwordx2 v[128:129], v[94:95], off offset:1232
	global_load_dwordx2 v[130:131], v[84:85], off offset:648
	global_load_dwordx2 v[132:133], v[82:83], off offset:3640
	global_load_dwordx2 v[134:135], v[94:95], off offset:1752
	global_load_dwordx2 v[136:137], v[94:95], off offset:2272
	global_load_dwordx2 v[138:139], v[94:95], off offset:2792
	global_load_dwordx2 v[140:141], v[94:95], off offset:3312
	v_add_co_u32_e32 v52, vcc, s0, v52
	global_load_dwordx2 v[142:143], v[94:95], off offset:3832
	s_nop 0
	v_addc_co_u32_e32 v53, vcc, 0, v53, vcc
	global_load_dwordx2 v[144:145], v[52:53], off offset:256
	ds_read2_b64 v[82:85], v154 offset1:65
	ds_read2_b64 v[94:97], v154 offset0:130 offset1:195
	global_load_dwordx2 v[52:53], v[52:53], off offset:776
	v_add_u32_e32 v87, 0x800, v154
	ds_read2_b64 v[98:101], v87 offset0:4 offset1:69
	v_add_u32_e32 v88, 0x1000, v154
	ds_read2_b64 v[102:105], v87 offset0:134 offset1:199
	ds_read2_b64 v[106:109], v88 offset0:8 offset1:73
	;; [unrolled: 1-line block ×3, first 2 shown]
	s_waitcnt vmcnt(16) lgkmcnt(5)
	v_mul_f32_e32 v89, v85, v115
	v_mul_f32_e32 v147, v84, v115
	s_waitcnt vmcnt(15) lgkmcnt(4)
	v_mul_f32_e32 v91, v95, v117
	v_mul_f32_e32 v115, v94, v117
	s_waitcnt vmcnt(14)
	v_mul_f32_e32 v92, v97, v119
	v_mul_f32_e32 v117, v96, v119
	s_waitcnt vmcnt(13) lgkmcnt(3)
	v_mul_f32_e32 v93, v99, v121
	v_mul_f32_e32 v119, v98, v121
	s_waitcnt vmcnt(12)
	v_mul_f32_e32 v148, v101, v123
	v_mul_f32_e32 v121, v100, v123
	s_waitcnt vmcnt(11) lgkmcnt(2)
	v_mul_f32_e32 v149, v103, v125
	v_mul_f32_e32 v123, v102, v125
	s_waitcnt vmcnt(10) lgkmcnt(1)
	v_mul_f32_e32 v150, v107, v127
	v_mul_f32_e32 v125, v106, v127
	s_waitcnt vmcnt(8)
	v_mul_f32_e32 v152, v83, v131
	v_mul_f32_e32 v127, v82, v131
	;; [unrolled: 1-line block ×3, first 2 shown]
	v_fma_f32 v146, v84, v114, -v89
	v_fmac_f32_e32 v147, v85, v114
	v_fma_f32 v114, v94, v116, -v91
	v_fmac_f32_e32 v115, v95, v116
	;; [unrolled: 2-line block ×6, first 2 shown]
	s_waitcnt vmcnt(7)
	v_mul_f32_e32 v84, v105, v133
	v_mul_f32_e32 v85, v104, v133
	v_fma_f32 v124, v106, v126, -v150
	v_fmac_f32_e32 v125, v107, v126
	v_fma_f32 v126, v82, v130, -v152
	v_fmac_f32_e32 v127, v83, v130
	v_mul_f32_e32 v95, v108, v129
	v_fma_f32 v94, v108, v128, -v151
	ds_write2_b64 v154, v[114:115], v[116:117] offset0:130 offset1:195
	ds_write2_b64 v87, v[118:119], v[120:121] offset0:4 offset1:69
	v_fma_f32 v84, v104, v132, -v84
	v_fmac_f32_e32 v85, v105, v132
	ds_write2_b64 v154, v[126:127], v[146:147] offset1:65
	ds_write2_b64 v87, v[122:123], v[84:85] offset0:134 offset1:199
	v_fmac_f32_e32 v95, v109, v128
	s_waitcnt vmcnt(6) lgkmcnt(4)
	v_mul_f32_e32 v82, v111, v135
	v_add_u32_e32 v89, 0x1800, v154
	ds_write2_b64 v88, v[124:125], v[94:95] offset0:8 offset1:73
	v_fma_f32 v94, v110, v134, -v82
	ds_read2_b64 v[82:85], v89 offset0:12 offset1:77
	v_mul_f32_e32 v95, v110, v135
	s_waitcnt vmcnt(5)
	v_mul_f32_e32 v87, v113, v137
	v_mul_f32_e32 v97, v112, v137
	v_fmac_f32_e32 v95, v111, v134
	v_fma_f32 v96, v112, v136, -v87
	v_fmac_f32_e32 v97, v113, v136
	ds_write2_b64 v88, v[94:95], v[96:97] offset0:138 offset1:203
	ds_read2_b64 v[94:97], v89 offset0:142 offset1:207
	s_waitcnt vmcnt(4) lgkmcnt(2)
	v_mul_f32_e32 v87, v83, v139
	v_mul_f32_e32 v99, v82, v139
	v_fma_f32 v98, v82, v138, -v87
	v_fmac_f32_e32 v99, v83, v138
	s_waitcnt vmcnt(3)
	v_mul_f32_e32 v82, v85, v141
	v_mul_f32_e32 v83, v84, v141
	v_fma_f32 v82, v84, v140, -v82
	v_fmac_f32_e32 v83, v85, v140
	ds_read_b64 v[84:85], v154 offset:8320
	ds_write2_b64 v89, v[98:99], v[82:83] offset0:12 offset1:77
	s_waitcnt vmcnt(2) lgkmcnt(2)
	v_mul_f32_e32 v83, v94, v143
	v_mul_f32_e32 v82, v95, v143
	v_fmac_f32_e32 v83, v95, v142
	s_waitcnt vmcnt(1)
	v_mul_f32_e32 v87, v97, v145
	v_mul_f32_e32 v95, v96, v145
	v_fma_f32 v82, v94, v142, -v82
	v_fma_f32 v94, v96, v144, -v87
	v_fmac_f32_e32 v95, v97, v144
	ds_write2_b64 v89, v[82:83], v[94:95] offset0:142 offset1:207
	s_waitcnt vmcnt(0) lgkmcnt(2)
	v_mul_f32_e32 v82, v85, v53
	v_mul_f32_e32 v83, v84, v53
	v_fma_f32 v82, v84, v52, -v82
	v_fmac_f32_e32 v83, v85, v52
	ds_write_b64 v154, v[82:83] offset:8320
.LBB0_13:
	s_or_b64 exec, exec, s[6:7]
	s_waitcnt lgkmcnt(0)
	s_barrier
	s_and_saveexec_b64 s[0:1], s[4:5]
	s_cbranch_execz .LBB0_15
; %bb.14:
	v_add_u32_e32 v48, 0x800, v154
	ds_read2_b64 v[54:57], v154 offset1:65
	ds_read2_b64 v[62:65], v154 offset0:130 offset1:195
	ds_read2_b64 v[66:69], v48 offset0:4 offset1:69
	;; [unrolled: 1-line block ×3, first 2 shown]
	v_add_u32_e32 v48, 0x1000, v154
	ds_read2_b64 v[70:73], v48 offset0:8 offset1:73
	ds_read2_b64 v[74:77], v48 offset0:138 offset1:203
	v_add_u32_e32 v48, 0x1800, v154
	ds_read2_b64 v[78:81], v48 offset0:12 offset1:77
	ds_read2_b64 v[48:51], v48 offset0:142 offset1:207
	ds_read_b64 v[244:245], v154 offset:8320
.LBB0_15:
	s_or_b64 exec, exec, s[0:1]
	s_waitcnt lgkmcnt(1)
	v_pk_add_f32 v[52:53], v[62:63], v[50:51] neg_lo:[0,1] neg_hi:[0,1]
	v_pk_add_f32 v[136:137], v[62:63], v[50:51]
	v_mov_b32_e32 v95, v52
	v_mov_b32_e32 v94, v136
	v_mov_b32_e32 v136, v53
	v_pk_add_f32 v[52:53], v[64:65], v[48:49] neg_lo:[0,1] neg_hi:[0,1]
	v_pk_add_f32 v[134:135], v[64:65], v[48:49]
	v_mov_b32_e32 v97, v52
	v_mov_b32_e32 v96, v134
	v_mov_b32_e32 v134, v53
	;; [unrolled: 5-line block ×5, first 2 shown]
	v_pk_add_f32 v[52:53], v[60:61], v[74:75] neg_lo:[0,1] neg_hi:[0,1]
	v_pk_add_f32 v[126:127], v[60:61], v[74:75]
	s_waitcnt lgkmcnt(0)
	v_pk_add_f32 v[138:139], v[244:245], v[56:57]
	v_pk_add_f32 v[140:141], v[56:57], v[244:245] neg_lo:[0,1] neg_hi:[0,1]
	v_mov_b32_e32 v104, v126
	v_mov_b32_e32 v105, v52
	;; [unrolled: 1-line block ×3, first 2 shown]
	v_pk_add_f32 v[52:53], v[70:71], v[72:73] neg_lo:[0,1] neg_hi:[0,1]
	v_pk_add_f32 v[124:125], v[70:71], v[72:73]
	s_mov_b32 s62, 0xbf65296c
	v_mov_b32_e32 v106, v124
	v_mov_b32_e32 v107, v52
	;; [unrolled: 1-line block ×5, first 2 shown]
	s_mov_b32 s63, 0x3ee437d1
	s_mov_b32 s34, 0xbf4c4adb
	v_pk_mul_f32 v[174:175], v[52:53], s[62:63]
	v_mov_b32_e32 v142, v138
	v_mov_b32_e32 v143, v140
	s_mov_b32 s0, s63
	s_mov_b32 s1, s62
	;; [unrolled: 1-line block ×3, first 2 shown]
	v_pk_fma_f32 v[82:83], v[142:143], s[0:1], v[174:175] neg_lo:[0,0,1] neg_hi:[0,0,1]
	v_pk_fma_f32 v[176:177], v[142:143], s[0:1], v[174:175]
	v_pk_mul_f32 v[178:179], v[136:137], s[34:35]
	s_mov_b32 s6, s35
	s_mov_b32 s7, s34
	;; [unrolled: 1-line block ×3, first 2 shown]
	v_mov_b32_e32 v83, v177
	v_pk_fma_f32 v[108:109], v[94:95], s[6:7], v[178:179] neg_lo:[0,0,1] neg_hi:[0,0,1]
	v_pk_fma_f32 v[180:181], v[94:95], s[6:7], v[178:179]
	s_mov_b32 s16, 0x3e3c28d5
	s_mov_b32 s17, s40
	v_pk_add_f32 v[82:83], v[54:55], v[82:83]
	v_mov_b32_e32 v109, v181
	v_pk_mul_f32 v[182:183], v[134:135], s[16:17]
	s_mov_b32 s41, s16
	s_mov_b32 s60, 0x3f763a35
	v_pk_add_f32 v[82:83], v[108:109], v[82:83]
	v_pk_fma_f32 v[108:109], v[96:97], s[40:41], v[182:183] neg_lo:[0,0,1] neg_hi:[0,0,1]
	v_pk_fma_f32 v[184:185], v[96:97], s[40:41], v[182:183]
	s_mov_b32 s61, 0xbe8c1d8e
	v_mov_b32_e32 v109, v185
	v_pk_mul_f32 v[186:187], v[132:133], s[60:61]
	s_mov_b32 s16, s61
	s_mov_b32 s17, s60
	s_mov_b32 s42, 0x3f2c7751
	v_pk_add_f32 v[82:83], v[108:109], v[82:83]
	v_pk_fma_f32 v[108:109], v[98:99], s[16:17], v[186:187] neg_lo:[0,0,1] neg_hi:[0,0,1]
	v_pk_fma_f32 v[188:189], v[98:99], s[16:17], v[186:187]
	s_mov_b32 s43, 0x3f3d2fb0
	v_mov_b32_e32 v109, v189
	v_pk_mul_f32 v[190:191], v[130:131], s[42:43]
	s_mov_b32 s26, s43
	;; [unrolled: 9-line block ×5, first 2 shown]
	s_mov_b32 s21, s46
	v_pk_add_f32 v[82:83], v[108:109], v[82:83]
	v_pk_fma_f32 v[108:109], v[106:107], s[20:21], v[206:207] neg_lo:[0,0,1] neg_hi:[0,0,1]
	v_pk_fma_f32 v[208:209], v[106:107], s[20:21], v[206:207]
	v_pk_mul_f32 v[204:205], v[52:53], s[56:57]
	s_mov_b32 s50, 0xbe3c28d5
	s_mov_b32 s51, s40
	v_mov_b32_e32 v109, v209
	v_pk_fma_f32 v[52:53], v[142:143], s[18:19], v[204:205] neg_lo:[0,0,1] neg_hi:[0,0,1]
	v_pk_fma_f32 v[202:203], v[142:143], s[18:19], v[204:205]
	v_pk_mul_f32 v[210:211], v[136:137], s[50:51]
	s_mov_b32 s22, s40
	s_mov_b32 s23, s50
	v_pk_add_f32 v[150:151], v[108:109], v[82:83]
	v_mov_b32_e32 v53, v203
	v_pk_fma_f32 v[108:109], v[94:95], s[22:23], v[210:211] neg_lo:[0,0,1] neg_hi:[0,0,1]
	v_pk_fma_f32 v[212:213], v[94:95], s[22:23], v[210:211]
	v_pk_add_f32 v[52:53], v[54:55], v[52:53]
	v_mov_b32_e32 v109, v213
	v_pk_mul_f32 v[216:217], v[134:135], s[60:61]
	v_pk_add_f32 v[52:53], v[108:109], v[52:53]
	v_pk_fma_f32 v[108:109], v[96:97], s[16:17], v[216:217] neg_lo:[0,0,1] neg_hi:[0,0,1]
	v_pk_fma_f32 v[214:215], v[96:97], s[16:17], v[216:217]
	s_mov_b32 s55, s49
	v_mov_b32_e32 v109, v215
	v_pk_mul_f32 v[218:219], v[132:133], s[54:55]
	s_mov_b32 s28, s49
	s_mov_b32 s29, s54
	v_pk_add_f32 v[52:53], v[108:109], v[52:53]
	v_pk_fma_f32 v[108:109], v[98:99], s[28:29], v[218:219] neg_lo:[0,0,1] neg_hi:[0,0,1]
	v_pk_fma_f32 v[220:221], v[98:99], s[28:29], v[218:219]
	v_pk_mul_f32 v[224:225], v[130:131], s[62:63]
	v_mov_b32_e32 v109, v221
	v_pk_add_f32 v[52:53], v[108:109], v[52:53]
	v_pk_fma_f32 v[108:109], v[100:101], s[0:1], v[224:225] neg_lo:[0,0,1] neg_hi:[0,0,1]
	v_pk_fma_f32 v[222:223], v[100:101], s[0:1], v[224:225]
	v_pk_mul_f32 v[228:229], v[128:129], s[46:47]
	v_mov_b32_e32 v109, v223
	v_pk_add_f32 v[52:53], v[108:109], v[52:53]
	v_pk_fma_f32 v[108:109], v[102:103], s[20:21], v[228:229] neg_lo:[0,0,1] neg_hi:[0,0,1]
	v_pk_fma_f32 v[226:227], v[102:103], s[20:21], v[228:229]
	s_mov_b32 s64, 0x3f4c4adb
	s_mov_b32 s65, s35
	v_mov_b32_e32 v109, v227
	v_pk_mul_f32 v[230:231], v[126:127], s[64:65]
	s_mov_b32 s44, s35
	s_mov_b32 s45, s64
	v_pk_add_f32 v[52:53], v[108:109], v[52:53]
	v_pk_fma_f32 v[108:109], v[104:105], s[44:45], v[230:231] neg_lo:[0,0,1] neg_hi:[0,0,1]
	v_pk_fma_f32 v[232:233], v[104:105], s[44:45], v[230:231]
	v_pk_mul_f32 v[236:237], v[124:125], s[42:43]
	v_mov_b32_e32 v109, v233
	v_pk_fma_f32 v[144:145], v[106:107], s[26:27], v[236:237] neg_lo:[0,0,1] neg_hi:[0,0,1]
	v_pk_fma_f32 v[234:235], v[106:107], s[26:27], v[236:237]
	v_pk_add_f32 v[52:53], v[108:109], v[52:53]
	v_mov_b32_e32 v145, v235
	v_mov_b32_e32 v84, v26
	;; [unrolled: 1-line block ×28, first 2 shown]
	v_pk_add_f32 v[52:53], v[144:145], v[52:53]
	s_barrier
	s_and_saveexec_b64 s[30:31], s[4:5]
	s_cbranch_execz .LBB0_17
; %bb.16:
	v_pk_add_f32 v[56:57], v[56:57], v[54:55]
	s_mov_b32 s36, s49
	v_pk_add_f32 v[56:57], v[62:63], v[56:57]
	v_pk_mul_f32 v[144:145], v[140:141], s[48:49] op_sel_hi:[1,0]
	v_pk_add_f32 v[56:57], v[64:65], v[56:57]
	s_mov_b32 s71, s43
	v_pk_add_f32 v[56:57], v[66:67], v[56:57]
	s_mov_b32 s39, 0xbf763a35
	;; [unrolled: 2-line block ×5, first 2 shown]
	v_pk_add_f32 v[56:57], v[70:71], v[56:57]
	v_pk_mul_f32 v[70:71], v[130:131], s[66:67]
	v_pk_add_f32 v[56:57], v[72:73], v[56:57]
	v_pk_mul_f32 v[72:73], v[132:133], s[56:57]
	v_pk_add_f32 v[56:57], v[74:75], v[56:57]
	v_pk_mul_f32 v[74:75], v[128:129], s[34:35]
	v_pk_add_f32 v[56:57], v[76:77], v[56:57]
	v_pk_mul_f32 v[76:77], v[134:135], s[62:63]
	v_pk_add_f32 v[56:57], v[78:79], v[56:57]
	v_pk_mul_f32 v[78:79], v[126:127], s[46:47]
	v_pk_add_f32 v[56:57], v[80:81], v[56:57]
	v_pk_mul_f32 v[66:67], v[124:125], s[50:51]
	v_pk_add_f32 v[48:49], v[48:49], v[56:57]
	v_pk_fma_f32 v[56:57], v[138:139], s[36:37], v[144:145] op_sel:[0,0,1] op_sel_hi:[1,0,0]
	v_pk_add_f32 v[48:49], v[50:51], v[48:49]
	v_pk_fma_f32 v[50:51], v[138:139], s[36:37], v[144:145] op_sel:[0,0,1] op_sel_hi:[1,0,0] neg_lo:[0,0,1] neg_hi:[0,0,1]
	s_mov_b32 s37, 0xbf2c7751
	s_mov_b32 s70, s37
	;; [unrolled: 1-line block ×3, first 2 shown]
	v_pk_mul_f32 v[80:81], v[136:137], s[70:71]
	v_accvgpr_write_b32 a5, v57
	v_mov_b32_e32 v57, v51
	v_pk_fma_f32 v[60:61], v[94:95], s[36:37], v[80:81]
	v_pk_fma_f32 v[58:59], v[94:95], s[36:37], v[80:81] neg_lo:[1,0,0] neg_hi:[1,0,0]
	v_pk_add_f32 v[56:57], v[54:55], v[56:57]
	v_mov_b32_e32 v58, v60
	v_accvgpr_write_b32 a9, v61
	v_pk_add_f32 v[56:57], v[58:59], v[56:57]
	v_pk_fma_f32 v[60:61], v[96:97], s[0:1], v[76:77]
	v_pk_fma_f32 v[58:59], v[96:97], s[0:1], v[76:77] neg_lo:[1,0,0] neg_hi:[1,0,0]
	v_accvgpr_write_b32 a11, v61
	v_mov_b32_e32 v58, v60
	v_pk_add_f32 v[56:57], v[58:59], v[56:57]
	v_pk_fma_f32 v[60:61], v[98:99], s[18:19], v[72:73]
	v_pk_fma_f32 v[58:59], v[98:99], s[18:19], v[72:73] neg_lo:[1,0,0] neg_hi:[1,0,0]
	v_accvgpr_write_b32 a13, v61
	v_mov_b32_e32 v58, v60
	;; [unrolled: 5-line block ×5, first 2 shown]
	v_pk_add_f32 v[56:57], v[58:59], v[56:57]
	v_pk_fma_f32 v[60:61], v[106:107], s[22:23], v[66:67]
	v_pk_fma_f32 v[58:59], v[106:107], s[22:23], v[66:67] neg_lo:[1,0,0] neg_hi:[1,0,0]
	v_accvgpr_write_b32 a3, v154
	v_accvgpr_write_b32 a4, v155
	v_mov_b64_e32 v[154:155], v[244:245]
	v_mul_lo_u16_e32 v62, 17, v240
	v_mov_b32_e32 v58, v60
	v_lshl_add_u32 v87, v62, 3, v90
	v_pk_add_f32 v[48:49], v[154:155], v[48:49]
	v_pk_add_f32 v[56:57], v[58:59], v[56:57]
	s_mov_b32 s58, s37
	ds_write2_b64 v87, v[48:49], v[56:57] offset1:1
	s_mov_b32 s52, s43
	v_pk_mul_f32 v[48:49], v[140:141], s[58:59] op_sel_hi:[1,0]
	v_pk_mul_f32 v[64:65], v[136:137], s[56:57]
	v_pk_fma_f32 v[56:57], v[138:139], s[52:53], v[48:49] op_sel:[0,0,1] op_sel_hi:[1,0,0]
	v_pk_fma_f32 v[144:145], v[138:139], s[52:53], v[48:49] op_sel:[0,0,1] op_sel_hi:[1,0,0] neg_lo:[0,0,1] neg_hi:[0,0,1]
	v_mov_b32_e32 v48, v56
	v_mov_b32_e32 v51, v57
	v_mov_b32_e32 v49, v145
	v_pk_fma_f32 v[58:59], v[94:95], s[18:19], v[64:65]
	v_pk_fma_f32 v[56:57], v[94:95], s[18:19], v[64:65] neg_lo:[1,0,0] neg_hi:[1,0,0]
	v_pk_add_f32 v[48:49], v[54:55], v[48:49]
	v_mov_b32_e32 v56, v58
	v_pk_mul_f32 v[62:63], v[134:135], s[34:35]
	v_pk_add_f32 v[48:49], v[56:57], v[48:49]
	v_pk_fma_f32 v[56:57], v[96:97], s[6:7], v[62:63]
	v_pk_fma_f32 v[68:69], v[96:97], s[6:7], v[62:63] neg_lo:[1,0,0] neg_hi:[1,0,0]
	v_accvgpr_write_b32 a21, v61
	v_mov_b32_e32 v68, v56
	v_pk_mul_f32 v[60:61], v[132:133], s[50:51]
	v_pk_add_f32 v[68:69], v[68:69], v[48:49]
	v_pk_fma_f32 v[48:49], v[98:99], s[22:23], v[60:61]
	v_pk_fma_f32 v[160:161], v[98:99], s[22:23], v[60:61] neg_lo:[1,0,0] neg_hi:[1,0,0]
	s_mov_b32 s53, 0x3f06c442
	v_mov_b32_e32 v160, v48
	s_mov_b32 s72, s53
	s_mov_b32 s73, s47
	v_pk_add_f32 v[162:163], v[160:161], v[68:69]
	s_mov_b32 s52, s47
	v_pk_mul_f32 v[160:161], v[130:131], s[72:73]
	v_accvgpr_write_b32 a27, v49
	v_pk_fma_f32 v[48:49], v[100:101], s[52:53], v[160:161]
	v_pk_fma_f32 v[164:165], v[100:101], s[52:53], v[160:161] neg_lo:[1,0,0] neg_hi:[1,0,0]
	s_mov_b32 s59, 0x3f65296c
	v_mov_b32_e32 v164, v48
	v_pk_add_f32 v[166:167], v[164:165], v[162:163]
	v_pk_mul_f32 v[164:165], v[128:129], s[60:61]
	s_mov_b32 s68, s59
	v_pk_fma_f32 v[162:163], v[102:103], s[16:17], v[164:165]
	v_pk_fma_f32 v[168:169], v[102:103], s[16:17], v[164:165] neg_lo:[1,0,0] neg_hi:[1,0,0]
	s_mov_b32 s69, s63
	v_mov_b32_e32 v168, v162
	v_pk_add_f32 v[170:171], v[168:169], v[166:167]
	s_mov_b32 s58, s63
	v_pk_mul_f32 v[168:169], v[126:127], s[68:69]
	v_accvgpr_write_b32 a0, v242
	v_pk_fma_f32 v[166:167], v[104:105], s[58:59], v[168:169]
	v_pk_fma_f32 v[172:173], v[104:105], s[58:59], v[168:169] neg_lo:[1,0,0] neg_hi:[1,0,0]
	v_accvgpr_write_b32 a1, v243
	v_mov_b32_e32 v172, v166
	v_pk_add_f32 v[154:155], v[172:173], v[170:171]
	v_pk_mul_f32 v[172:173], v[124:125], s[54:55]
	v_pk_mul_f32 v[242:243], v[142:143], s[0:1]
	v_pk_fma_f32 v[68:69], v[106:107], s[28:29], v[172:173]
	v_pk_fma_f32 v[170:171], v[106:107], s[28:29], v[172:173] neg_lo:[1,0,0] neg_hi:[1,0,0]
	v_pk_mul_f32 v[244:245], v[94:95], s[6:7]
	v_mov_b32_e32 v170, v68
	v_pk_add_f32 v[154:155], v[170:171], v[154:155]
	v_pk_add_f32 v[170:171], v[174:175], v[242:243] neg_lo:[0,1] neg_hi:[0,1]
	v_pk_mul_f32 v[246:247], v[96:97], s[40:41]
	v_mov_b32_e32 v177, v171
	v_pk_add_f32 v[174:175], v[178:179], v[244:245] neg_lo:[0,1] neg_hi:[0,1]
	v_pk_mul_f32 v[248:249], v[98:99], s[16:17]
	v_pk_add_f32 v[170:171], v[54:55], v[176:177]
	v_mov_b32_e32 v181, v175
	v_pk_add_f32 v[174:175], v[182:183], v[246:247] neg_lo:[0,1] neg_hi:[0,1]
	v_pk_mul_f32 v[250:251], v[100:101], s[26:27]
	v_pk_add_f32 v[170:171], v[180:181], v[170:171]
	;; [unrolled: 4-line block ×5, first 2 shown]
	v_mov_b32_e32 v197, v175
	v_pk_add_f32 v[174:175], v[198:199], v[254:255] neg_lo:[0,1] neg_hi:[0,1]
	v_pk_add_f32 v[170:171], v[196:197], v[170:171]
	v_mov_b32_e32 v201, v175
	v_pk_add_f32 v[82:83], v[206:207], v[82:83] neg_lo:[0,1] neg_hi:[0,1]
	v_pk_add_f32 v[170:171], v[200:201], v[170:171]
	v_mov_b32_e32 v209, v83
	v_pk_mul_f32 v[92:93], v[142:143], s[18:19]
	v_pk_mul_f32 v[142:143], v[94:95], s[22:23]
	v_pk_add_f32 v[82:83], v[208:209], v[170:171]
	v_pk_mul_f32 v[146:147], v[96:97], s[16:17]
	ds_write2_b64 v87, v[154:155], v[82:83] offset0:2 offset1:3
	v_pk_add_f32 v[82:83], v[204:205], v[92:93] neg_lo:[0,1] neg_hi:[0,1]
	v_pk_add_f32 v[92:93], v[210:211], v[142:143] neg_lo:[0,1] neg_hi:[0,1]
	v_pk_mul_f32 v[88:89], v[98:99], s[28:29]
	v_accvgpr_write_b32 a6, v150
	v_mov_b32_e32 v213, v93
	v_pk_add_f32 v[92:93], v[216:217], v[146:147] neg_lo:[0,1] neg_hi:[0,1]
	v_accvgpr_write_b32 a7, v151
	v_pk_mul_f32 v[150:151], v[100:101], s[0:1]
	v_mov_b32_e32 v215, v93
	v_pk_add_f32 v[92:93], v[218:219], v[88:89] neg_lo:[0,1] neg_hi:[0,1]
	v_pk_mul_f32 v[148:149], v[102:103], s[20:21]
	v_mov_b32_e32 v221, v93
	v_pk_add_f32 v[92:93], v[224:225], v[150:151] neg_lo:[0,1] neg_hi:[0,1]
	v_accvgpr_write_b32 a2, v153
	v_pk_mul_f32 v[152:153], v[104:105], s[44:45]
	v_mov_b32_e32 v223, v93
	v_pk_add_f32 v[92:93], v[228:229], v[148:149] neg_lo:[0,1] neg_hi:[0,1]
	v_pk_mul_f32 v[156:157], v[106:107], s[26:27]
	v_mov_b32_e32 v227, v93
	v_pk_add_f32 v[92:93], v[230:231], v[152:153] neg_lo:[0,1] neg_hi:[0,1]
	s_mov_b32 s76, s39
	v_mov_b32_e32 v233, v93
	v_pk_add_f32 v[92:93], v[236:237], v[156:157] neg_lo:[0,1] neg_hi:[0,1]
	s_mov_b32 s74, s61
	v_mov_b32_e32 v235, v93
	v_pk_mul_f32 v[92:93], v[140:141], s[76:77] op_sel_hi:[1,0]
	v_pk_mul_f32 v[180:181], v[136:137], s[72:73]
	v_pk_fma_f32 v[174:175], v[138:139], s[74:75], v[92:93] op_sel:[0,0,1] op_sel_hi:[1,0,0]
	v_pk_fma_f32 v[176:177], v[138:139], s[74:75], v[92:93] op_sel:[0,0,1] op_sel_hi:[1,0,0] neg_lo:[0,0,1] neg_hi:[0,0,1]
	v_mov_b32_e32 v92, v174
	v_mov_b32_e32 v93, v177
	v_pk_fma_f32 v[178:179], v[94:95], s[52:53], v[180:181]
	v_pk_fma_f32 v[142:143], v[94:95], s[52:53], v[180:181] neg_lo:[1,0,0] neg_hi:[1,0,0]
	v_pk_add_f32 v[92:93], v[54:55], v[92:93]
	v_mov_b32_e32 v142, v178
	v_pk_mul_f32 v[184:185], v[134:135], s[42:43]
	v_pk_add_f32 v[92:93], v[142:143], v[92:93]
	v_pk_fma_f32 v[182:183], v[96:97], s[26:27], v[184:185]
	v_pk_fma_f32 v[142:143], v[96:97], s[26:27], v[184:185] neg_lo:[1,0,0] neg_hi:[1,0,0]
	v_pk_mul_f32 v[188:189], v[132:133], s[62:63]
	v_mov_b32_e32 v142, v182
	v_pk_add_f32 v[92:93], v[142:143], v[92:93]
	v_pk_fma_f32 v[186:187], v[98:99], s[0:1], v[188:189]
	v_pk_fma_f32 v[142:143], v[98:99], s[0:1], v[188:189] neg_lo:[1,0,0] neg_hi:[1,0,0]
	v_pk_mul_f32 v[192:193], v[130:131], s[50:51]
	v_mov_b32_e32 v142, v186
	s_mov_b32 s63, 0x3f7ee86f
	v_mov_b32_e32 v203, v83
	v_pk_add_f32 v[92:93], v[142:143], v[92:93]
	v_pk_fma_f32 v[190:191], v[100:101], s[22:23], v[192:193]
	v_pk_fma_f32 v[142:143], v[100:101], s[22:23], v[192:193] neg_lo:[1,0,0] neg_hi:[1,0,0]
	s_mov_b32 s72, s63
	s_mov_b32 s73, s57
	v_pk_add_f32 v[82:83], v[54:55], v[202:203]
	v_mov_b32_e32 v142, v190
	s_mov_b32 s62, s57
	v_pk_mul_f32 v[196:197], v[128:129], s[72:73]
	v_pk_add_f32 v[82:83], v[212:213], v[82:83]
	v_pk_add_f32 v[92:93], v[142:143], v[92:93]
	v_pk_fma_f32 v[194:195], v[102:103], s[62:63], v[196:197]
	v_pk_fma_f32 v[142:143], v[102:103], s[62:63], v[196:197] neg_lo:[1,0,0] neg_hi:[1,0,0]
	v_pk_add_f32 v[82:83], v[214:215], v[82:83]
	v_mov_b32_e32 v142, v194
	v_pk_mul_f32 v[200:201], v[126:127], s[48:49]
	v_pk_add_f32 v[82:83], v[220:221], v[82:83]
	v_pk_add_f32 v[92:93], v[142:143], v[92:93]
	v_pk_fma_f32 v[198:199], v[104:105], s[24:25], v[200:201]
	v_pk_fma_f32 v[142:143], v[104:105], s[24:25], v[200:201] neg_lo:[1,0,0] neg_hi:[1,0,0]
	v_pk_add_f32 v[82:83], v[222:223], v[82:83]
	v_mov_b32_e32 v142, v198
	;; [unrolled: 7-line block ×3, first 2 shown]
	v_pk_add_f32 v[82:83], v[234:235], v[82:83]
	v_pk_add_f32 v[92:93], v[142:143], v[92:93]
	ds_write2_b64 v87, v[82:83], v[92:93] offset0:4 offset1:5
	s_mov_b32 s74, s35
	v_pk_mul_f32 v[82:83], v[140:141], s[34:35] op_sel_hi:[1,0]
	v_pk_mul_f32 v[146:147], v[136:137], s[60:61]
	v_pk_fma_f32 v[92:93], v[138:139], s[74:75], v[82:83] op_sel:[0,0,1] op_sel_hi:[1,0,0]
	v_pk_fma_f32 v[82:83], v[138:139], s[74:75], v[82:83] op_sel:[0,0,1] op_sel_hi:[1,0,0] neg_lo:[0,0,1] neg_hi:[0,0,1]
	v_accvgpr_write_b32 a23, v59
	v_mov_b32_e32 v142, v92
	v_mov_b32_e32 v143, v83
	v_pk_fma_f32 v[58:59], v[94:95], s[16:17], v[146:147]
	v_pk_fma_f32 v[150:151], v[94:95], s[16:17], v[146:147] neg_lo:[1,0,0] neg_hi:[1,0,0]
	v_pk_add_f32 v[142:143], v[54:55], v[142:143]
	v_mov_b32_e32 v150, v58
	v_pk_add_f32 v[142:143], v[150:151], v[142:143]
	v_pk_mul_f32 v[150:151], v[134:135], s[48:49]
	v_accvgpr_write_b32 a25, v57
	v_pk_fma_f32 v[56:57], v[96:97], s[24:25], v[150:151]
	v_pk_fma_f32 v[154:155], v[96:97], s[24:25], v[150:151] neg_lo:[1,0,0] neg_hi:[1,0,0]
	v_accvgpr_write_b32 a29, v49
	v_mov_b32_e32 v154, v56
	v_pk_add_f32 v[142:143], v[154:155], v[142:143]
	v_pk_mul_f32 v[154:155], v[132:133], s[46:47]
	s_mov_b32 s60, s47
	v_pk_fma_f32 v[48:49], v[98:99], s[20:21], v[154:155]
	v_pk_fma_f32 v[170:171], v[98:99], s[20:21], v[154:155] neg_lo:[1,0,0] neg_hi:[1,0,0]
	v_pk_mul_f32 v[226:227], v[136:137], s[68:69]
	v_mov_b32_e32 v170, v48
	v_pk_add_f32 v[142:143], v[170:171], v[142:143]
	v_pk_mul_f32 v[170:171], v[130:131], s[72:73]
	v_pk_fma_f32 v[228:229], v[94:95], s[58:59], v[226:227]
	v_pk_fma_f32 v[206:207], v[100:101], s[62:63], v[170:171]
	v_pk_fma_f32 v[208:209], v[100:101], s[62:63], v[170:171] neg_lo:[1,0,0] neg_hi:[1,0,0]
	v_pk_fma_f32 v[230:231], v[94:95], s[58:59], v[226:227] neg_lo:[1,0,0] neg_hi:[1,0,0]
	v_mov_b32_e32 v208, v206
	v_pk_add_f32 v[142:143], v[208:209], v[142:143]
	v_pk_mul_f32 v[208:209], v[128:129], s[70:71]
	v_mov_b32_e32 v230, v228
	v_pk_fma_f32 v[210:211], v[102:103], s[36:37], v[208:209]
	v_pk_fma_f32 v[212:213], v[102:103], s[36:37], v[208:209] neg_lo:[1,0,0] neg_hi:[1,0,0]
	v_pk_mul_f32 v[136:137], v[136:137], s[54:55]
	v_mov_b32_e32 v212, v210
	v_pk_add_f32 v[142:143], v[212:213], v[142:143]
	v_pk_mul_f32 v[212:213], v[126:127], s[50:51]
	v_mov_b32_e32 v56, v240
	v_pk_fma_f32 v[214:215], v[104:105], s[22:23], v[212:213]
	v_pk_fma_f32 v[216:217], v[104:105], s[22:23], v[212:213] neg_lo:[1,0,0] neg_hi:[1,0,0]
	v_mov_b32_e32 v48, v238
	v_mov_b32_e32 v216, v214
	v_pk_add_f32 v[142:143], v[216:217], v[142:143]
	v_pk_mul_f32 v[216:217], v[124:125], s[68:69]
	v_mov_b32_e32 v83, v93
	v_pk_fma_f32 v[218:219], v[106:107], s[58:59], v[216:217]
	v_pk_fma_f32 v[220:221], v[106:107], s[58:59], v[216:217] neg_lo:[1,0,0] neg_hi:[1,0,0]
	v_pk_add_f32 v[82:83], v[54:55], v[82:83]
	v_mov_b32_e32 v220, v218
	v_pk_add_f32 v[142:143], v[220:221], v[142:143]
	v_pk_mul_f32 v[220:221], v[140:141], s[46:47] op_sel_hi:[1,0]
	v_pk_mul_f32 v[140:141], v[140:141], s[50:51] op_sel_hi:[1,0]
	v_pk_fma_f32 v[222:223], v[138:139], s[60:61], v[220:221] op_sel:[0,0,1] op_sel_hi:[1,0,0]
	v_pk_fma_f32 v[220:221], v[138:139], s[60:61], v[220:221] op_sel:[0,0,1] op_sel_hi:[1,0,0] neg_lo:[0,0,1] neg_hi:[0,0,1]
	v_mov_b32_e32 v224, v222
	v_mov_b32_e32 v225, v221
	v_pk_add_f32 v[224:225], v[54:55], v[224:225]
	v_mov_b32_e32 v221, v223
	v_pk_add_f32 v[224:225], v[230:231], v[224:225]
	v_pk_mul_f32 v[230:231], v[134:135], s[56:57]
	v_pk_mul_f32 v[134:135], v[134:135], s[46:47]
	v_pk_fma_f32 v[232:233], v[96:97], s[18:19], v[230:231]
	v_pk_fma_f32 v[234:235], v[96:97], s[18:19], v[230:231] neg_lo:[1,0,0] neg_hi:[1,0,0]
	v_pk_fma_f32 v[240:241], v[96:97], s[20:21], v[134:135]
	v_mov_b32_e32 v234, v232
	v_pk_add_f32 v[224:225], v[234:235], v[224:225]
	v_pk_mul_f32 v[234:235], v[132:133], s[64:65]
	v_pk_mul_f32 v[132:133], v[132:133], s[42:43]
	v_pk_fma_f32 v[236:237], v[98:99], s[44:45], v[234:235]
	v_pk_fma_f32 v[242:243], v[98:99], s[44:45], v[234:235] neg_lo:[1,0,0] neg_hi:[1,0,0]
	v_pk_fma_f32 v[88:89], v[98:99], s[26:27], v[132:133]
	;; [unrolled: 7-line block ×6, first 2 shown]
	v_mov_b32_e32 v158, v90
	v_pk_add_f32 v[158:159], v[158:159], v[224:225]
	ds_write2_b64 v87, v[142:143], v[158:159] offset0:6 offset1:7
	v_pk_fma_f32 v[142:143], v[138:139], s[40:41], v[140:141] op_sel:[0,0,1] op_sel_hi:[1,0,0]
	v_pk_fma_f32 v[138:139], v[138:139], s[40:41], v[140:141] op_sel:[0,0,1] op_sel_hi:[1,0,0] neg_lo:[0,0,1] neg_hi:[0,0,1]
	v_mov_b32_e32 v140, v142
	v_mov_b32_e32 v141, v139
	v_pk_fma_f32 v[158:159], v[94:95], s[28:29], v[136:137]
	v_pk_fma_f32 v[224:225], v[94:95], s[28:29], v[136:137] neg_lo:[1,0,0] neg_hi:[1,0,0]
	v_pk_add_f32 v[140:141], v[54:55], v[140:141]
	v_mov_b32_e32 v224, v158
	v_pk_add_f32 v[140:141], v[224:225], v[140:141]
	v_pk_fma_f32 v[224:225], v[96:97], s[20:21], v[134:135] neg_lo:[1,0,0] neg_hi:[1,0,0]
	v_mov_b32_e32 v139, v143
	v_mov_b32_e32 v224, v240
	v_pk_add_f32 v[140:141], v[224:225], v[140:141]
	v_pk_fma_f32 v[224:225], v[98:99], s[26:27], v[132:133] neg_lo:[1,0,0] neg_hi:[1,0,0]
	v_pk_fma_f32 v[136:137], v[94:95], s[28:29], v[136:137] neg_lo:[0,0,1] neg_hi:[0,0,1]
	v_mov_b32_e32 v224, v88
	v_pk_add_f32 v[140:141], v[224:225], v[140:141]
	v_pk_fma_f32 v[224:225], v[100:101], s[6:7], v[130:131] neg_lo:[1,0,0] neg_hi:[1,0,0]
	v_pk_add_f32 v[138:139], v[54:55], v[138:139]
	v_mov_b32_e32 v224, v238
	v_mov_b32_e32 v137, v159
	v_pk_fma_f32 v[134:135], v[96:97], s[20:21], v[134:135] neg_lo:[0,0,1] neg_hi:[0,0,1]
	v_pk_add_f32 v[140:141], v[224:225], v[140:141]
	v_pk_fma_f32 v[224:225], v[102:103], s[58:59], v[128:129] neg_lo:[1,0,0] neg_hi:[1,0,0]
	v_pk_add_f32 v[136:137], v[136:137], v[138:139]
	v_mov_b32_e32 v135, v241
	v_pk_fma_f32 v[132:133], v[98:99], s[26:27], v[132:133] neg_lo:[0,0,1] neg_hi:[0,0,1]
	v_mov_b32_e32 v224, v148
	v_pk_add_f32 v[134:135], v[134:135], v[136:137]
	v_mov_b32_e32 v133, v89
	v_pk_fma_f32 v[130:131], v[100:101], s[6:7], v[130:131] neg_lo:[0,0,1] neg_hi:[0,0,1]
	v_pk_add_f32 v[140:141], v[224:225], v[140:141]
	v_pk_fma_f32 v[224:225], v[104:105], s[38:39], v[126:127] neg_lo:[1,0,0] neg_hi:[1,0,0]
	v_pk_add_f32 v[88:89], v[132:133], v[134:135]
	v_mov_b32_e32 v131, v239
	v_pk_fma_f32 v[128:129], v[102:103], s[58:59], v[128:129] neg_lo:[0,0,1] neg_hi:[0,0,1]
	v_mov_b32_e32 v224, v152
	v_pk_add_f32 v[88:89], v[130:131], v[88:89]
	;; [unrolled: 9-line block ×3, first 2 shown]
	v_mov_b32_e32 v125, v157
	v_pk_add_f32 v[140:141], v[224:225], v[140:141]
	v_pk_add_f32 v[88:89], v[124:125], v[88:89]
	v_pk_fma_f32 v[124:125], v[94:95], s[58:59], v[226:227] neg_lo:[0,0,1] neg_hi:[0,0,1]
	ds_write2_b64 v87, v[140:141], v[88:89] offset0:8 offset1:9
	v_pk_add_f32 v[88:89], v[54:55], v[220:221]
	v_mov_b32_e32 v125, v229
	v_pk_add_f32 v[88:89], v[124:125], v[88:89]
	v_pk_fma_f32 v[124:125], v[96:97], s[18:19], v[230:231] neg_lo:[0,0,1] neg_hi:[0,0,1]
	v_mov_b32_e32 v240, v56
	v_mov_b32_e32 v125, v233
	v_pk_add_f32 v[88:89], v[124:125], v[88:89]
	v_pk_fma_f32 v[124:125], v[98:99], s[44:45], v[234:235] neg_lo:[0,0,1] neg_hi:[0,0,1]
	v_mov_b32_e32 v238, v48
	;; [unrolled: 4-line block ×4, first 2 shown]
	v_mov_b32_e32 v125, v249
	v_pk_add_f32 v[88:89], v[124:125], v[88:89]
	v_pk_fma_f32 v[124:125], v[104:105], s[26:27], v[250:251] neg_lo:[0,0,1] neg_hi:[0,0,1]
	v_accvgpr_read_b32 v51, a5
	v_mov_b32_e32 v125, v253
	v_pk_add_f32 v[88:89], v[124:125], v[88:89]
	v_pk_fma_f32 v[124:125], v[106:107], s[38:39], v[254:255] neg_lo:[0,0,1] neg_hi:[0,0,1]
	v_accvgpr_read_b32 v153, a2
	v_mov_b32_e32 v125, v91
	v_pk_fma_f32 v[90:91], v[94:95], s[16:17], v[146:147] neg_lo:[0,0,1] neg_hi:[0,0,1]
	v_pk_add_f32 v[88:89], v[124:125], v[88:89]
	v_mov_b32_e32 v91, v59
	v_pk_add_f32 v[58:59], v[90:91], v[82:83]
	v_pk_fma_f32 v[82:83], v[96:97], s[24:25], v[150:151] neg_lo:[0,0,1] neg_hi:[0,0,1]
	v_accvgpr_read_b32 v151, a7
	v_mov_b32_e32 v83, v57
	v_pk_add_f32 v[56:57], v[82:83], v[58:59]
	v_pk_fma_f32 v[58:59], v[98:99], s[20:21], v[154:155] neg_lo:[0,0,1] neg_hi:[0,0,1]
	v_accvgpr_read_b32 v150, a6
	;; [unrolled: 4-line block ×6, first 2 shown]
	v_mov_b32_e32 v57, v219
	v_pk_add_f32 v[48:49], v[56:57], v[48:49]
	v_pk_fma_f32 v[56:57], v[94:95], s[52:53], v[180:181] neg_lo:[0,0,1] neg_hi:[0,0,1]
	ds_write2_b64 v87, v[88:89], v[48:49] offset0:10 offset1:11
	v_pk_add_f32 v[48:49], v[54:55], v[176:177]
	v_mov_b32_e32 v57, v179
	v_pk_add_f32 v[48:49], v[56:57], v[48:49]
	v_pk_fma_f32 v[56:57], v[96:97], s[26:27], v[184:185] neg_lo:[0,0,1] neg_hi:[0,0,1]
	s_nop 0
	v_mov_b32_e32 v57, v183
	v_pk_add_f32 v[48:49], v[56:57], v[48:49]
	v_pk_fma_f32 v[56:57], v[98:99], s[0:1], v[188:189] neg_lo:[0,0,1] neg_hi:[0,0,1]
	s_nop 0
	;; [unrolled: 4-line block ×6, first 2 shown]
	v_mov_b32_e32 v57, v203
	v_pk_add_f32 v[48:49], v[56:57], v[48:49]
	v_pk_fma_f32 v[56:57], v[94:95], s[18:19], v[64:65] neg_lo:[0,0,1] neg_hi:[0,0,1]
	ds_write2_b64 v87, v[48:49], v[52:53] offset0:12 offset1:13
	v_pk_add_f32 v[48:49], v[54:55], v[144:145]
	v_accvgpr_read_b32 v57, a23
	v_pk_add_f32 v[48:49], v[56:57], v[48:49]
	v_pk_fma_f32 v[56:57], v[96:97], s[6:7], v[62:63] neg_lo:[0,0,1] neg_hi:[0,0,1]
	s_nop 0
	v_accvgpr_read_b32 v57, a25
	v_pk_add_f32 v[48:49], v[56:57], v[48:49]
	v_pk_fma_f32 v[56:57], v[98:99], s[22:23], v[60:61] neg_lo:[0,0,1] neg_hi:[0,0,1]
	s_nop 0
	v_accvgpr_read_b32 v57, a27
	v_pk_add_f32 v[48:49], v[56:57], v[48:49]
	v_pk_fma_f32 v[56:57], v[100:101], s[52:53], v[160:161] neg_lo:[0,0,1] neg_hi:[0,0,1]
	s_nop 0
	v_accvgpr_read_b32 v57, a29
	v_pk_add_f32 v[48:49], v[56:57], v[48:49]
	v_pk_fma_f32 v[56:57], v[102:103], s[16:17], v[164:165] neg_lo:[0,0,1] neg_hi:[0,0,1]
	s_nop 0
	v_mov_b32_e32 v57, v163
	v_pk_add_f32 v[48:49], v[56:57], v[48:49]
	v_pk_fma_f32 v[56:57], v[104:105], s[58:59], v[168:169] neg_lo:[0,0,1] neg_hi:[0,0,1]
	s_nop 0
	v_mov_b32_e32 v57, v167
	v_pk_add_f32 v[48:49], v[56:57], v[48:49]
	v_pk_fma_f32 v[56:57], v[106:107], s[28:29], v[172:173] neg_lo:[0,0,1] neg_hi:[0,0,1]
	s_nop 0
	v_mov_b32_e32 v57, v69
	v_pk_add_f32 v[48:49], v[56:57], v[48:49]
	ds_write2_b64 v87, v[150:151], v[48:49] offset0:14 offset1:15
	v_pk_add_f32 v[48:49], v[54:55], v[50:51]
	v_pk_fma_f32 v[50:51], v[94:95], s[36:37], v[80:81] neg_lo:[0,0,1] neg_hi:[0,0,1]
	s_nop 0
	v_accvgpr_read_b32 v51, a9
	v_pk_add_f32 v[48:49], v[50:51], v[48:49]
	v_pk_fma_f32 v[50:51], v[96:97], s[0:1], v[76:77] neg_lo:[0,0,1] neg_hi:[0,0,1]
	s_nop 0
	v_accvgpr_read_b32 v51, a11
	;; [unrolled: 4-line block ×7, first 2 shown]
	v_pk_add_f32 v[48:49], v[50:51], v[48:49]
	ds_write_b64 v87, v[48:49] offset:128
.LBB0_17:
	s_or_b64 exec, exec, s[30:31]
	s_waitcnt lgkmcnt(0)
	s_barrier
	ds_read2_b64 v[48:51], v86 offset1:85
	v_mov_b32_e32 v72, v29
	v_add_u32_e32 v68, 0x800, v86
	ds_read2_b64 v[68:71], v68 offset0:84 offset1:169
	s_mov_b32 s18, 0xbf52af12
	s_waitcnt lgkmcnt(1)
	v_pk_mul_f32 v[72:73], v[72:73], v[50:51] op_sel:[0,1] op_sel_hi:[1,0]
	v_pk_mul_f32 v[76:77], v[28:29], v[50:51] op_sel:[0,1] op_sel_hi:[1,0]
	v_pk_fma_f32 v[82:83], v[28:29], v[50:51], v[72:73]
	ds_read2_b64 v[72:75], v86 offset0:170 offset1:255
	v_mov_b32_e32 v76, v77
	v_pk_fma_f32 v[50:51], v[28:29], v[50:51], v[76:77] op_sel:[0,1,0] op_sel_hi:[1,0,1] neg_lo:[0,0,1] neg_hi:[0,0,1]
	v_mov_b32_e32 v28, v31
	s_waitcnt lgkmcnt(1)
	v_pk_mul_f32 v[26:27], v[26:27], v[68:69]
	s_waitcnt lgkmcnt(0)
	v_pk_mul_f32 v[28:29], v[28:29], v[72:73] op_sel:[0,1] op_sel_hi:[1,0]
	v_pk_mul_f32 v[20:21], v[20:21], v[70:71]
	v_pk_fma_f32 v[88:89], v[30:31], v[72:73], v[28:29]
	v_pk_mul_f32 v[28:29], v[30:31], v[72:73] op_sel:[0,1] op_sel_hi:[1,0]
	v_pk_add_f32 v[98:99], v[48:49], v[82:83]
	v_mov_b32_e32 v28, v29
	v_pk_fma_f32 v[90:91], v[30:31], v[72:73], v[28:29] op_sel:[0,1,0] op_sel_hi:[1,0,1] neg_lo:[0,0,1] neg_hi:[0,0,1]
	v_mov_b32_e32 v28, v25
	v_pk_mul_f32 v[28:29], v[28:29], v[74:75] op_sel:[0,1] op_sel_hi:[1,0]
	v_pk_fma_f32 v[100:101], v[84:85], v[68:69], v[26:27] op_sel:[0,0,1] op_sel_hi:[1,1,0]
	v_pk_fma_f32 v[96:97], v[24:25], v[74:75], v[28:29]
	v_pk_mul_f32 v[28:29], v[24:25], v[74:75] op_sel:[0,1] op_sel_hi:[1,0]
	v_pk_fma_f32 v[84:85], v[84:85], v[68:69], v[26:27] op_sel:[0,0,1] op_sel_hi:[1,1,0] neg_lo:[0,0,1] neg_hi:[0,0,1]
	v_mov_b32_e32 v28, v29
	v_pk_fma_f32 v[24:25], v[24:25], v[74:75], v[28:29] op_sel:[0,1,0] op_sel_hi:[1,0,1] neg_lo:[0,0,1] neg_hi:[0,0,1]
	v_mov_b32_e32 v29, v50
	v_pk_add_f32 v[76:77], v[48:49], v[28:29]
	v_add_u32_e32 v74, 0xc00, v86
	v_add_u32_e32 v75, 0x1000, v86
	ds_read2_b64 v[28:31], v74 offset0:126 offset1:211
	ds_read2_b64 v[78:81], v75 offset0:168 offset1:253
	v_add_u32_e32 v76, 0x1800, v86
	ds_read2_b64 v[92:95], v76 offset0:82 offset1:167
	ds_read_b64 v[72:73], v86 offset:8160
	v_pk_fma_f32 v[26:27], v[122:123], v[70:71], v[20:21] op_sel:[0,0,1] op_sel_hi:[1,1,0]
	s_waitcnt lgkmcnt(3)
	v_pk_mul_f32 v[22:23], v[22:23], v[28:29]
	v_pk_mul_f32 v[16:17], v[16:17], v[30:31]
	s_waitcnt lgkmcnt(2)
	v_pk_mul_f32 v[18:19], v[18:19], v[78:79]
	v_pk_mul_f32 v[12:13], v[12:13], v[80:81]
	s_waitcnt lgkmcnt(1)
	v_pk_mul_f32 v[4:5], v[4:5], v[94:95]
	v_pk_fma_f32 v[20:21], v[122:123], v[70:71], v[20:21] op_sel:[0,0,1] op_sel_hi:[1,1,0] neg_lo:[0,0,1] neg_hi:[0,0,1]
	v_pk_fma_f32 v[102:103], v[120:121], v[28:29], v[22:23] op_sel:[0,0,1] op_sel_hi:[1,1,0]
	v_pk_fma_f32 v[22:23], v[120:121], v[28:29], v[22:23] op_sel:[0,0,1] op_sel_hi:[1,1,0] neg_lo:[0,0,1] neg_hi:[0,0,1]
	v_pk_fma_f32 v[104:105], v[118:119], v[30:31], v[16:17] op_sel:[0,0,1] op_sel_hi:[1,1,0]
	;; [unrolled: 2-line block ×4, first 2 shown]
	v_pk_fma_f32 v[80:81], v[114:115], v[80:81], v[12:13] op_sel:[0,0,1] op_sel_hi:[1,1,0] neg_lo:[0,0,1] neg_hi:[0,0,1]
	v_pk_mul_f32 v[12:13], v[14:15], v[92:93]
	v_pk_fma_f32 v[120:121], v[110:111], v[94:95], v[4:5] op_sel:[0,0,1] op_sel_hi:[1,1,0]
	v_pk_fma_f32 v[94:95], v[110:111], v[94:95], v[4:5] op_sel:[0,0,1] op_sel_hi:[1,1,0] neg_lo:[0,0,1] neg_hi:[0,0,1]
	s_waitcnt lgkmcnt(0)
	v_pk_mul_f32 v[4:5], v[6:7], v[72:73]
	v_mov_b32_e32 v70, v26
	v_mov_b32_e32 v28, v102
	;; [unrolled: 1-line block ×6, first 2 shown]
	v_pk_fma_f32 v[118:119], v[112:113], v[92:93], v[12:13] op_sel:[0,0,1] op_sel_hi:[1,1,0]
	v_pk_fma_f32 v[92:93], v[112:113], v[92:93], v[12:13] op_sel:[0,0,1] op_sel_hi:[1,1,0] neg_lo:[0,0,1] neg_hi:[0,0,1]
	v_pk_fma_f32 v[6:7], v[108:109], v[72:73], v[4:5] op_sel:[0,0,1] op_sel_hi:[1,1,0]
	v_pk_fma_f32 v[108:109], v[108:109], v[72:73], v[4:5] op_sel:[0,0,1] op_sel_hi:[1,1,0] neg_lo:[0,0,1] neg_hi:[0,0,1]
	v_pk_add_f32 v[14:15], v[26:27], v[106:107]
	v_pk_add_f32 v[4:5], v[26:27], v[106:107] neg_lo:[0,1] neg_hi:[0,1]
	v_pk_add_f32 v[106:107], v[20:21], v[18:19] neg_lo:[0,1] neg_hi:[0,1]
	v_pk_add_f32 v[26:27], v[20:21], v[18:19]
	v_pk_add_f32 v[12:13], v[102:103], v[104:105]
	v_pk_add_f32 v[18:19], v[102:103], v[104:105] neg_lo:[0,1] neg_hi:[0,1]
	v_pk_add_f32 v[102:103], v[22:23], v[16:17] neg_lo:[0,1] neg_hi:[0,1]
	v_pk_add_f32 v[22:23], v[22:23], v[16:17]
	v_mov_b32_e32 v99, v77
	v_mov_b32_e32 v16, v88
	;; [unrolled: 1-line block ×4, first 2 shown]
	v_pk_add_f32 v[16:17], v[98:99], v[16:17]
	v_mov_b32_e32 v18, v96
	v_mov_b32_e32 v19, v24
	;; [unrolled: 1-line block ×4, first 2 shown]
	v_pk_add_f32 v[16:17], v[16:17], v[18:19]
	v_mov_b32_e32 v71, v21
	v_pk_add_f32 v[16:17], v[16:17], v[68:69]
	v_mov_b32_e32 v30, v104
	;; [unrolled: 2-line block ×7, first 2 shown]
	v_mov_b32_e32 v111, v95
	v_pk_add_f32 v[16:17], v[16:17], v[112:113]
	v_mov_b32_e32 v122, v6
	v_mov_b32_e32 v123, v109
	v_pk_add_f32 v[16:17], v[16:17], v[110:111]
	s_mov_b32 s19, 0x3f116cb1
	v_pk_add_f32 v[78:79], v[16:17], v[122:123]
	v_pk_add_f32 v[16:17], v[82:83], v[6:7]
	v_pk_add_f32 v[6:7], v[82:83], v[6:7] neg_lo:[0,1] neg_hi:[0,1]
	s_mov_b32 s0, s19
	s_mov_b32 s1, s18
	v_mov_b32_e32 v17, v6
	v_pk_add_f32 v[6:7], v[50:51], v[108:109] op_sel:[0,1] neg_lo:[0,1] neg_hi:[0,1]
	v_pk_add_f32 v[28:29], v[50:51], v[108:109] op_sel_hi:[0,1]
	v_mov_b32_e32 v28, v6
	v_pk_mul_f32 v[82:83], v[16:17], s[0:1]
	s_mov_b32 s24, 0xbf6f5d39
	v_pk_fma_f32 v[18:19], v[6:7], s[18:19], v[82:83] neg_lo:[1,0,0] neg_hi:[1,0,0]
	v_pk_fma_f32 v[98:99], v[28:29], s[18:19], v[82:83]
	v_pk_add_f32 v[30:31], v[88:89], v[120:121] neg_lo:[0,1] neg_hi:[0,1]
	v_mov_b32_e32 v19, v99
	v_pk_add_f32 v[20:21], v[48:49], v[18:19]
	v_pk_add_f32 v[18:19], v[88:89], v[120:121]
	s_mov_b32 s25, 0xbeb58ec6
	v_mov_b32_e32 v19, v30
	v_pk_add_f32 v[50:51], v[90:91], v[94:95] op_sel:[0,1] neg_lo:[0,1] neg_hi:[0,1]
	v_pk_add_f32 v[30:31], v[90:91], v[94:95] op_sel_hi:[0,1]
	s_mov_b32 s6, s25
	s_mov_b32 s7, s24
	v_mov_b32_e32 v30, v50
	v_pk_mul_f32 v[88:89], v[18:19], s[6:7]
	s_mov_b32 s28, 0xbe750f2a
	v_pk_fma_f32 v[68:69], v[50:51], s[24:25], v[88:89] neg_lo:[1,0,0] neg_hi:[1,0,0]
	v_pk_fma_f32 v[90:91], v[30:31], s[24:25], v[88:89]
	s_mov_b32 s29, 0xbf788fa5
	v_mov_b32_e32 v69, v91
	v_pk_add_f32 v[70:71], v[68:69], v[20:21]
	v_pk_add_f32 v[20:21], v[96:97], v[118:119]
	v_pk_add_f32 v[68:69], v[96:97], v[118:119] neg_lo:[0,1] neg_hi:[0,1]
	v_pk_add_f32 v[94:95], v[24:25], v[92:93] op_sel:[0,1] neg_lo:[0,1] neg_hi:[0,1]
	v_mov_b32_e32 v21, v68
	v_pk_add_f32 v[68:69], v[24:25], v[92:93] op_sel_hi:[0,1]
	s_mov_b32 s22, s29
	s_mov_b32 s23, s28
	v_mov_b32_e32 v68, v94
	v_pk_mul_f32 v[92:93], v[20:21], s[22:23]
	s_mov_b32 s42, 0x3f29c268
	v_pk_fma_f32 v[24:25], v[94:95], s[28:29], v[92:93] neg_lo:[1,0,0] neg_hi:[1,0,0]
	v_pk_fma_f32 v[96:97], v[68:69], s[28:29], v[92:93]
	s_mov_b32 s43, 0xbf3f9e67
	v_mov_b32_e32 v25, v97
	v_pk_add_f32 v[104:105], v[24:25], v[70:71]
	v_pk_add_f32 v[24:25], v[100:101], v[116:117]
	v_pk_add_f32 v[70:71], v[100:101], v[116:117] neg_lo:[0,1] neg_hi:[0,1]
	s_mov_b32 s36, 0x3f7e222b
	v_mov_b32_e32 v25, v70
	v_pk_add_f32 v[100:101], v[84:85], v[80:81] neg_lo:[0,1] neg_hi:[0,1]
	v_pk_add_f32 v[70:71], v[84:85], v[80:81]
	s_mov_b32 s16, s43
	s_mov_b32 s17, s42
	s_mov_b32 s37, 0x3df6dbef
	v_mov_b32_e32 v15, v4
	v_mov_b32_e32 v70, v101
	v_pk_mul_f32 v[80:81], v[24:25], s[16:17]
	s_mov_b32 s26, s37
	s_mov_b32 s27, s36
	v_mov_b32_e32 v26, v107
	v_pk_fma_f32 v[84:85], v[100:101], s[42:43], v[80:81] op_sel:[1,0,0] neg_lo:[1,0,0] neg_hi:[1,0,0]
	v_pk_fma_f32 v[108:109], v[70:71], s[42:43], v[80:81]
	v_pk_mul_f32 v[120:121], v[14:15], s[26:27]
	v_mov_b32_e32 v85, v109
	s_mov_b32 s38, 0x3eedf032
	v_pk_fma_f32 v[122:123], v[106:107], s[36:37], v[120:121] op_sel:[1,0,0] neg_lo:[1,0,0] neg_hi:[1,0,0]
	v_pk_fma_f32 v[126:127], v[26:27], s[36:37], v[120:121]
	s_mov_b32 s40, 0xbf29c268
	v_pk_add_f32 v[84:85], v[84:85], v[104:105]
	s_mov_b32 s39, 0x3f62ad3f
	v_mov_b32_e32 v123, v127
	s_mov_b32 s34, s43
	s_mov_b32 s35, s40
	;; [unrolled: 1-line block ×3, first 2 shown]
	v_pk_mul_f32 v[124:125], v[14:15], s[0:1]
	v_pk_add_f32 v[84:85], v[122:123], v[84:85]
	s_mov_b32 s41, s43
	v_pk_mul_f32 v[122:123], v[14:15], s[34:35]
	s_mov_b32 s30, s39
	s_mov_b32 s31, s48
	v_pk_fma_f32 v[4:5], v[106:107], s[18:19], v[124:125] op_sel:[1,0,0] neg_lo:[1,0,0] neg_hi:[1,0,0]
	v_mov_b32_e32 v22, v103
	v_pk_fma_f32 v[106:107], v[106:107], s[40:41], v[122:123] op_sel:[1,0,0] neg_lo:[1,0,0] neg_hi:[1,0,0]
	v_pk_fma_f32 v[128:129], v[26:27], s[40:41], v[122:123]
	v_pk_mul_f32 v[130:131], v[12:13], s[22:23]
	s_mov_b32 s49, s39
	v_pk_mul_f32 v[136:137], v[16:17], s[30:31]
	v_pk_fma_f32 v[122:123], v[26:27], s[40:41], v[122:123] neg_lo:[0,0,1] neg_hi:[0,0,1]
	s_mov_b32 s44, 0x3f6f5d39
	v_mov_b32_e32 v107, v129
	v_pk_fma_f32 v[132:133], v[102:103], s[28:29], v[130:131] op_sel:[1,0,0] neg_lo:[1,0,0] neg_hi:[1,0,0]
	v_pk_fma_f32 v[134:135], v[22:23], s[28:29], v[130:131]
	v_pk_fma_f32 v[6:7], v[6:7], s[48:49], v[136:137] neg_lo:[1,0,0] neg_hi:[1,0,0]
	v_pk_fma_f32 v[138:139], v[28:29], s[48:49], v[136:137]
	v_pk_mul_f32 v[140:141], v[18:19], s[0:1]
	s_mov_b32 s46, 0xbf7e222b
	v_mov_b32_e32 v129, v123
	v_pk_fma_f32 v[122:123], v[22:23], s[28:29], v[130:131] neg_lo:[0,0,1] neg_hi:[0,0,1]
	s_mov_b32 s20, s25
	s_mov_b32 s21, s44
	v_mov_b32_e32 v133, v135
	v_mov_b32_e32 v7, v139
	v_pk_fma_f32 v[50:51], v[50:51], s[18:19], v[140:141] neg_lo:[1,0,0] neg_hi:[1,0,0]
	v_pk_fma_f32 v[142:143], v[30:31], s[18:19], v[140:141]
	s_mov_b32 s30, s37
	s_mov_b32 s31, s46
	v_mov_b32_e32 v135, v123
	v_pk_fma_f32 v[122:123], v[28:29], s[48:49], v[136:137] neg_lo:[0,0,1] neg_hi:[0,0,1]
	s_mov_b32 s45, s25
	v_pk_mul_f32 v[104:105], v[20:21], s[20:21]
	v_pk_add_f32 v[6:7], v[48:49], v[6:7]
	v_mov_b32_e32 v51, v143
	s_mov_b32 s47, s37
	v_pk_mul_f32 v[144:145], v[20:21], s[30:31]
	v_mov_b32_e32 v139, v123
	v_pk_fma_f32 v[130:131], v[30:31], s[18:19], v[140:141] neg_lo:[0,0,1] neg_hi:[0,0,1]
	v_pk_fma_f32 v[110:111], v[94:95], s[44:45], v[104:105] neg_lo:[1,0,0] neg_hi:[1,0,0]
	s_mov_b32 s20, s39
	s_mov_b32 s21, s38
	v_pk_add_f32 v[6:7], v[50:51], v[6:7]
	v_pk_fma_f32 v[50:51], v[94:95], s[46:47], v[144:145] neg_lo:[1,0,0] neg_hi:[1,0,0]
	v_pk_fma_f32 v[94:95], v[68:69], s[46:47], v[144:145]
	v_pk_add_f32 v[122:123], v[48:49], v[138:139]
	v_mov_b32_e32 v143, v131
	v_pk_fma_f32 v[130:131], v[68:69], s[46:47], v[144:145] neg_lo:[0,0,1] neg_hi:[0,0,1]
	v_pk_mul_f32 v[114:115], v[24:25], s[20:21]
	v_mov_b32_e32 v51, v95
	v_pk_mul_f32 v[146:147], v[24:25], s[6:7]
	v_pk_add_f32 v[122:123], v[142:143], v[122:123]
	v_mov_b32_e32 v95, v131
	v_pk_fma_f32 v[116:117], v[100:101], s[38:39], v[114:115] op_sel:[1,0,0] neg_lo:[1,0,0] neg_hi:[1,0,0]
	v_pk_add_f32 v[6:7], v[50:51], v[6:7]
	v_pk_fma_f32 v[50:51], v[100:101], s[24:25], v[146:147] op_sel:[1,0,0] neg_lo:[1,0,0] neg_hi:[1,0,0]
	v_pk_fma_f32 v[100:101], v[70:71], s[24:25], v[146:147]
	v_pk_add_f32 v[94:95], v[94:95], v[122:123]
	v_pk_fma_f32 v[122:123], v[70:71], s[24:25], v[146:147] neg_lo:[0,0,1] neg_hi:[0,0,1]
	v_mov_b32_e32 v51, v101
	v_mov_b32_e32 v101, v123
	v_pk_add_f32 v[94:95], v[100:101], v[94:95]
	v_pk_add_f32 v[6:7], v[50:51], v[6:7]
	;; [unrolled: 1-line block ×3, first 2 shown]
	v_pk_fma_f32 v[80:81], v[70:71], s[42:43], v[80:81] neg_lo:[0,0,1] neg_hi:[0,0,1]
	v_pk_add_f32 v[6:7], v[106:107], v[6:7]
	v_pk_mul_f32 v[106:107], v[12:13], s[20:21]
	v_pk_add_f32 v[94:95], v[134:135], v[94:95]
	v_mov_b32_e32 v109, v81
	v_pk_fma_f32 v[80:81], v[26:27], s[36:37], v[120:121] neg_lo:[0,0,1] neg_hi:[0,0,1]
	v_pk_add_f32 v[50:51], v[132:133], v[6:7]
	v_pk_fma_f32 v[6:7], v[102:103], s[38:39], v[106:107] op_sel:[1,0,0] neg_lo:[1,0,0] neg_hi:[1,0,0]
	v_pk_fma_f32 v[132:133], v[22:23], s[38:39], v[106:107]
	s_barrier
	ds_write2_b64 v153, v[78:79], v[94:95] offset1:17
	v_pk_fma_f32 v[78:79], v[28:29], s[18:19], v[82:83] neg_lo:[0,0,1] neg_hi:[0,0,1]
	v_mov_b32_e32 v127, v81
	v_pk_fma_f32 v[80:81], v[22:23], s[38:39], v[106:107] neg_lo:[0,0,1] neg_hi:[0,0,1]
	v_pk_fma_f32 v[72:73], v[26:27], s[18:19], v[124:125]
	v_mov_b32_e32 v7, v133
	v_mov_b32_e32 v99, v79
	v_pk_fma_f32 v[82:83], v[30:31], s[24:25], v[88:89] neg_lo:[0,0,1] neg_hi:[0,0,1]
	v_mov_b32_e32 v133, v81
	v_pk_fma_f32 v[80:81], v[26:27], s[18:19], v[124:125] neg_lo:[0,0,1] neg_hi:[0,0,1]
	v_mov_b32_e32 v5, v73
	v_pk_add_f32 v[78:79], v[48:49], v[98:99]
	v_mov_b32_e32 v91, v83
	v_pk_fma_f32 v[82:83], v[68:69], s[28:29], v[92:93] neg_lo:[0,0,1] neg_hi:[0,0,1]
	v_mov_b32_e32 v73, v81
	v_pk_mul_f32 v[80:81], v[28:29], s[46:47]
	v_pk_add_f32 v[78:79], v[90:91], v[78:79]
	v_mov_b32_e32 v97, v83
	v_pk_fma_f32 v[82:83], v[16:17], s[30:31], v[80:81]
	v_pk_fma_f32 v[88:89], v[16:17], s[30:31], v[80:81] neg_lo:[1,0,0] neg_hi:[1,0,0]
	v_pk_mul_f32 v[90:91], v[30:31], s[28:29]
	v_mov_b32_e32 v88, v82
	v_pk_fma_f32 v[80:81], v[16:17], s[30:31], v[80:81] neg_lo:[0,0,1] neg_hi:[0,0,1]
	v_pk_fma_f32 v[92:93], v[18:19], s[22:23], v[90:91]
	v_pk_fma_f32 v[94:95], v[18:19], s[22:23], v[90:91] neg_lo:[1,0,0] neg_hi:[1,0,0]
	v_pk_fma_f32 v[112:113], v[68:69], s[44:45], v[104:105]
	v_pk_add_f32 v[88:89], v[48:49], v[88:89]
	v_mov_b32_e32 v94, v92
	v_mov_b32_e32 v81, v83
	v_pk_fma_f32 v[82:83], v[68:69], s[44:45], v[104:105] neg_lo:[0,0,1] neg_hi:[0,0,1]
	v_mov_b32_e32 v111, v113
	v_pk_add_f32 v[88:89], v[94:95], v[88:89]
	v_pk_fma_f32 v[90:91], v[18:19], s[22:23], v[90:91] neg_lo:[0,0,1] neg_hi:[0,0,1]
	v_mov_b32_e32 v113, v83
	v_pk_fma_f32 v[118:119], v[70:71], s[38:39], v[114:115]
	v_pk_add_f32 v[80:81], v[48:49], v[80:81]
	v_mov_b32_e32 v91, v93
	v_pk_add_f32 v[82:83], v[112:113], v[88:89]
	v_pk_fma_f32 v[88:89], v[70:71], s[38:39], v[114:115] neg_lo:[0,0,1] neg_hi:[0,0,1]
	v_mov_b32_e32 v117, v119
	v_pk_add_f32 v[80:81], v[90:91], v[80:81]
	v_mov_b32_e32 v119, v89
	v_pk_add_f32 v[80:81], v[110:111], v[80:81]
	v_pk_add_f32 v[82:83], v[118:119], v[82:83]
	;; [unrolled: 1-line block ×3, first 2 shown]
	v_pk_mul_f32 v[84:85], v[12:13], s[34:35]
	v_pk_add_f32 v[80:81], v[116:117], v[80:81]
	v_pk_add_f32 v[72:73], v[72:73], v[82:83]
	v_pk_mul_f32 v[82:83], v[28:29], s[24:25]
	v_pk_fma_f32 v[102:103], v[102:103], s[40:41], v[84:85] op_sel:[1,0,0] neg_lo:[1,0,0] neg_hi:[1,0,0]
	v_pk_fma_f32 v[148:149], v[22:23], s[40:41], v[84:85]
	v_pk_add_f32 v[4:5], v[4:5], v[80:81]
	v_pk_fma_f32 v[80:81], v[22:23], s[40:41], v[84:85] neg_lo:[0,0,1] neg_hi:[0,0,1]
	v_pk_fma_f32 v[84:85], v[16:17], s[6:7], v[82:83]
	v_pk_fma_f32 v[88:89], v[16:17], s[6:7], v[82:83] neg_lo:[1,0,0] neg_hi:[1,0,0]
	v_pk_mul_f32 v[90:91], v[30:31], s[42:43]
	v_mov_b32_e32 v88, v84
	v_pk_fma_f32 v[92:93], v[18:19], s[16:17], v[90:91]
	v_pk_fma_f32 v[94:95], v[18:19], s[16:17], v[90:91] neg_lo:[1,0,0] neg_hi:[1,0,0]
	v_pk_add_f32 v[88:89], v[48:49], v[88:89]
	v_mov_b32_e32 v94, v92
	v_pk_add_f32 v[78:79], v[96:97], v[78:79]
	v_pk_add_f32 v[88:89], v[94:95], v[88:89]
	v_pk_mul_f32 v[94:95], v[68:69], s[38:39]
	v_pk_add_f32 v[78:79], v[108:109], v[78:79]
	v_pk_fma_f32 v[96:97], v[20:21], s[20:21], v[94:95]
	v_pk_fma_f32 v[98:99], v[20:21], s[20:21], v[94:95] neg_lo:[1,0,0] neg_hi:[1,0,0]
	v_mov_b32_e32 v103, v149
	v_pk_add_f32 v[78:79], v[126:127], v[78:79]
	v_mov_b32_e32 v149, v81
	v_mov_b32_e32 v98, v96
	v_pk_mul_f32 v[110:111], v[28:29], s[40:41]
	v_pk_add_f32 v[78:79], v[132:133], v[78:79]
	v_pk_add_f32 v[72:73], v[148:149], v[72:73]
	s_mov_b32 s48, 0x3e750f2a
	s_mov_b32 s49, s29
	v_pk_add_f32 v[88:89], v[98:99], v[88:89]
	v_pk_mul_f32 v[98:99], v[70:71], s[46:47]
	v_pk_fma_f32 v[112:113], v[16:17], s[34:35], v[110:111]
	v_pk_fma_f32 v[114:115], v[16:17], s[34:35], v[110:111] neg_lo:[1,0,0] neg_hi:[1,0,0]
	v_pk_mul_f32 v[116:117], v[30:31], s[36:37]
	v_pk_add_f32 v[4:5], v[102:103], v[4:5]
	ds_write2_b64 v153, v[78:79], v[72:73] offset0:34 offset1:51
	v_pk_mul_f32 v[72:73], v[26:27], s[48:49]
	s_mov_b32 s44, s29
	s_mov_b32 s45, s48
	v_pk_fma_f32 v[100:101], v[24:25], s[30:31], v[98:99]
	v_pk_fma_f32 v[102:103], v[24:25], s[30:31], v[98:99] neg_lo:[1,0,0] neg_hi:[1,0,0]
	v_mov_b32_e32 v114, v112
	v_pk_fma_f32 v[118:119], v[18:19], s[26:27], v[116:117]
	v_pk_fma_f32 v[120:121], v[18:19], s[26:27], v[116:117] neg_lo:[1,0,0] neg_hi:[1,0,0]
	v_pk_fma_f32 v[78:79], v[14:15], s[44:45], v[72:73]
	v_pk_fma_f32 v[80:81], v[14:15], s[44:45], v[72:73] neg_lo:[1,0,0] neg_hi:[1,0,0]
	v_mov_b32_e32 v102, v100
	v_pk_add_f32 v[114:115], v[48:49], v[114:115]
	v_mov_b32_e32 v120, v118
	v_mov_b32_e32 v80, v78
	v_pk_add_f32 v[88:89], v[102:103], v[88:89]
	s_mov_b32 s46, 0x3f52af12
	s_mov_b32 s47, s19
	v_pk_add_f32 v[114:115], v[120:121], v[114:115]
	v_pk_mul_f32 v[120:121], v[68:69], s[18:19]
	v_pk_add_f32 v[80:81], v[80:81], v[88:89]
	v_pk_mul_f32 v[88:89], v[22:23], s[46:47]
	s_mov_b32 s42, s19
	s_mov_b32 s43, s46
	v_pk_fma_f32 v[122:123], v[20:21], s[0:1], v[120:121]
	v_pk_fma_f32 v[124:125], v[20:21], s[0:1], v[120:121] neg_lo:[1,0,0] neg_hi:[1,0,0]
	v_pk_fma_f32 v[102:103], v[12:13], s[42:43], v[88:89]
	v_pk_fma_f32 v[104:105], v[12:13], s[42:43], v[88:89] neg_lo:[1,0,0] neg_hi:[1,0,0]
	v_mov_b32_e32 v124, v122
	v_mov_b32_e32 v104, v102
	v_pk_add_f32 v[114:115], v[124:125], v[114:115]
	v_pk_mul_f32 v[124:125], v[70:71], s[48:49]
	v_pk_add_f32 v[80:81], v[104:105], v[80:81]
	v_pk_mul_f32 v[104:105], v[26:27], s[38:39]
	v_pk_fma_f32 v[126:127], v[24:25], s[44:45], v[124:125]
	v_pk_fma_f32 v[128:129], v[24:25], s[44:45], v[124:125] neg_lo:[1,0,0] neg_hi:[1,0,0]
	v_pk_fma_f32 v[106:107], v[14:15], s[20:21], v[104:105]
	v_pk_fma_f32 v[108:109], v[14:15], s[20:21], v[104:105] neg_lo:[1,0,0] neg_hi:[1,0,0]
	v_mov_b32_e32 v128, v126
	v_mov_b32_e32 v108, v106
	v_pk_add_f32 v[114:115], v[128:129], v[114:115]
	v_pk_mul_f32 v[28:29], v[28:29], s[28:29]
	v_pk_add_f32 v[108:109], v[108:109], v[114:115]
	v_pk_mul_f32 v[114:115], v[22:23], s[24:25]
	v_pk_fma_f32 v[132:133], v[16:17], s[22:23], v[28:29] neg_lo:[1,0,0] neg_hi:[1,0,0]
	v_pk_fma_f32 v[128:129], v[12:13], s[6:7], v[114:115]
	v_pk_fma_f32 v[130:131], v[12:13], s[6:7], v[114:115] neg_lo:[1,0,0] neg_hi:[1,0,0]
	v_pk_mul_f32 v[30:31], v[30:31], s[38:39]
	v_mov_b32_e32 v130, v128
	v_pk_add_f32 v[108:109], v[130:131], v[108:109]
	v_pk_fma_f32 v[130:131], v[16:17], s[22:23], v[28:29]
	v_pk_fma_f32 v[134:135], v[18:19], s[20:21], v[30:31]
	v_mov_b32_e32 v132, v130
	v_pk_fma_f32 v[136:137], v[18:19], s[20:21], v[30:31] neg_lo:[1,0,0] neg_hi:[1,0,0]
	v_pk_fma_f32 v[28:29], v[16:17], s[22:23], v[28:29] neg_lo:[0,0,1] neg_hi:[0,0,1]
	v_pk_add_f32 v[132:133], v[48:49], v[132:133]
	v_mov_b32_e32 v136, v134
	v_pk_mul_f32 v[68:69], v[68:69], s[40:41]
	v_mov_b32_e32 v29, v131
	v_pk_fma_f32 v[30:31], v[18:19], s[20:21], v[30:31] neg_lo:[0,0,1] neg_hi:[0,0,1]
	v_pk_add_f32 v[132:133], v[136:137], v[132:133]
	v_pk_fma_f32 v[136:137], v[20:21], s[34:35], v[68:69]
	v_pk_fma_f32 v[138:139], v[20:21], s[34:35], v[68:69] neg_lo:[1,0,0] neg_hi:[1,0,0]
	v_pk_add_f32 v[28:29], v[48:49], v[28:29]
	v_mov_b32_e32 v31, v135
	v_mov_b32_e32 v138, v136
	v_pk_mul_f32 v[70:71], v[70:71], s[46:47]
	v_pk_add_f32 v[28:29], v[30:31], v[28:29]
	v_pk_fma_f32 v[30:31], v[20:21], s[34:35], v[68:69] neg_lo:[0,0,1] neg_hi:[0,0,1]
	v_pk_mul_f32 v[26:27], v[26:27], s[24:25]
	v_pk_add_f32 v[132:133], v[138:139], v[132:133]
	v_pk_fma_f32 v[138:139], v[24:25], s[42:43], v[70:71]
	v_pk_fma_f32 v[140:141], v[24:25], s[42:43], v[70:71] neg_lo:[1,0,0] neg_hi:[1,0,0]
	v_mov_b32_e32 v31, v137
	ds_write2_b64 v153, v[80:81], v[108:109] offset0:68 offset1:85
	v_pk_fma_f32 v[80:81], v[14:15], s[6:7], v[26:27]
	v_pk_fma_f32 v[108:109], v[14:15], s[6:7], v[26:27] neg_lo:[1,0,0] neg_hi:[1,0,0]
	v_mov_b32_e32 v140, v138
	v_pk_add_f32 v[28:29], v[30:31], v[28:29]
	v_pk_fma_f32 v[30:31], v[24:25], s[42:43], v[70:71] neg_lo:[0,0,1] neg_hi:[0,0,1]
	v_mov_b32_e32 v108, v80
	v_pk_add_f32 v[132:133], v[140:141], v[132:133]
	v_pk_mul_f32 v[22:23], v[22:23], s[36:37]
	v_pk_fma_f32 v[26:27], v[14:15], s[6:7], v[26:27] neg_lo:[0,0,1] neg_hi:[0,0,1]
	v_mov_b32_e32 v31, v139
	v_pk_add_f32 v[108:109], v[108:109], v[132:133]
	v_pk_fma_f32 v[132:133], v[12:13], s[26:27], v[22:23]
	v_pk_fma_f32 v[140:141], v[12:13], s[26:27], v[22:23] neg_lo:[1,0,0] neg_hi:[1,0,0]
	v_mov_b32_e32 v27, v81
	v_pk_add_f32 v[28:29], v[30:31], v[28:29]
	v_pk_fma_f32 v[22:23], v[12:13], s[26:27], v[22:23] neg_lo:[0,0,1] neg_hi:[0,0,1]
	v_pk_add_f32 v[26:27], v[26:27], v[28:29]
	v_mov_b32_e32 v23, v133
	v_pk_add_f32 v[22:23], v[22:23], v[26:27]
	v_pk_fma_f32 v[26:27], v[16:17], s[34:35], v[110:111] neg_lo:[0,0,1] neg_hi:[0,0,1]
	v_pk_fma_f32 v[28:29], v[18:19], s[26:27], v[116:117] neg_lo:[0,0,1] neg_hi:[0,0,1]
	v_mov_b32_e32 v27, v113
	v_pk_fma_f32 v[16:17], v[16:17], s[6:7], v[82:83] neg_lo:[0,0,1] neg_hi:[0,0,1]
	v_pk_add_f32 v[26:27], v[48:49], v[26:27]
	v_mov_b32_e32 v29, v119
	v_mov_b32_e32 v17, v85
	v_pk_fma_f32 v[18:19], v[18:19], s[16:17], v[90:91] neg_lo:[0,0,1] neg_hi:[0,0,1]
	v_pk_add_f32 v[26:27], v[28:29], v[26:27]
	v_pk_fma_f32 v[28:29], v[20:21], s[0:1], v[120:121] neg_lo:[0,0,1] neg_hi:[0,0,1]
	v_pk_add_f32 v[16:17], v[48:49], v[16:17]
	v_mov_b32_e32 v19, v93
	v_mov_b32_e32 v140, v132
	;; [unrolled: 1-line block ×3, first 2 shown]
	v_pk_add_f32 v[16:17], v[18:19], v[16:17]
	v_pk_fma_f32 v[18:19], v[20:21], s[20:21], v[94:95] neg_lo:[0,0,1] neg_hi:[0,0,1]
	v_pk_add_f32 v[108:109], v[140:141], v[108:109]
	v_pk_add_f32 v[26:27], v[28:29], v[26:27]
	v_pk_fma_f32 v[28:29], v[24:25], s[44:45], v[124:125] neg_lo:[0,0,1] neg_hi:[0,0,1]
	v_mov_b32_e32 v19, v97
	ds_write2_b64 v153, v[108:109], v[22:23] offset0:102 offset1:119
	v_pk_fma_f32 v[22:23], v[14:15], s[20:21], v[104:105] neg_lo:[0,0,1] neg_hi:[0,0,1]
	v_mov_b32_e32 v29, v127
	v_pk_add_f32 v[16:17], v[18:19], v[16:17]
	v_pk_fma_f32 v[18:19], v[24:25], s[30:31], v[98:99] neg_lo:[0,0,1] neg_hi:[0,0,1]
	v_mov_b32_e32 v23, v107
	v_pk_add_f32 v[26:27], v[28:29], v[26:27]
	v_pk_fma_f32 v[14:15], v[14:15], s[44:45], v[72:73] neg_lo:[0,0,1] neg_hi:[0,0,1]
	v_mov_b32_e32 v19, v101
	v_pk_add_f32 v[22:23], v[22:23], v[26:27]
	v_pk_fma_f32 v[26:27], v[12:13], s[6:7], v[114:115] neg_lo:[0,0,1] neg_hi:[0,0,1]
	v_mov_b32_e32 v15, v79
	v_pk_add_f32 v[16:17], v[18:19], v[16:17]
	v_pk_fma_f32 v[12:13], v[12:13], s[42:43], v[88:89] neg_lo:[0,0,1] neg_hi:[0,0,1]
	v_mov_b32_e32 v27, v129
	v_pk_add_f32 v[14:15], v[14:15], v[16:17]
	v_mov_b32_e32 v13, v103
	v_pk_add_f32 v[22:23], v[26:27], v[22:23]
	v_pk_add_f32 v[12:13], v[12:13], v[14:15]
	v_add_u32_e32 v16, 0x400, v86
	ds_write2_b64 v153, v[22:23], v[12:13] offset0:136 offset1:153
	ds_write2_b64 v153, v[4:5], v[6:7] offset0:170 offset1:187
	ds_write_b64 v153, v[50:51] offset:1632
	s_waitcnt lgkmcnt(0)
	s_barrier
	ds_read2_b64 v[12:15], v86 offset1:85
	ds_read2_b64 v[28:31], v16 offset0:93 offset1:178
	ds_read2_b64 v[24:27], v74 offset0:58 offset1:143
	;; [unrolled: 1-line block ×4, first 2 shown]
	v_mov_b32_e32 v66, v36
	v_mov_b32_e32 v67, v36
	;; [unrolled: 1-line block ×24, first 2 shown]
	v_add_u32_e32 v68, 0x2a8, v155
	s_and_saveexec_b64 s[0:1], s[2:3]
	s_cbranch_execz .LBB0_19
; %bb.18:
	v_add_u32_e32 v4, 0x500, v86
	v_add_u32_e32 v50, 0x1300, v86
	ds_read2_b64 v[4:7], v4 offset0:10 offset1:231
	ds_read2_b64 v[50:53], v50 offset0:4 offset1:225
	ds_read_b64 v[150:151], v86 offset:8432
.LBB0_19:
	s_or_b64 exec, exec, s[0:1]
	s_waitcnt lgkmcnt(3)
	v_pk_mul_f32 v[36:37], v[36:37], v[28:29]
	s_waitcnt lgkmcnt(2)
	v_pk_mul_f32 v[38:39], v[38:39], v[24:25]
	v_pk_fma_f32 v[70:71], v[66:67], v[28:29], v[36:37] op_sel:[0,0,1] op_sel_hi:[1,1,0]
	v_pk_fma_f32 v[28:29], v[66:67], v[28:29], v[36:37] op_sel:[0,0,1] op_sel_hi:[1,1,0] neg_lo:[0,0,1] neg_hi:[0,0,1]
	s_waitcnt lgkmcnt(1)
	v_pk_mul_f32 v[32:33], v[32:33], v[20:21]
	v_mov_b32_e32 v71, v29
	v_pk_fma_f32 v[28:29], v[64:65], v[24:25], v[38:39] op_sel:[0,0,1] op_sel_hi:[1,1,0]
	v_pk_fma_f32 v[24:25], v[64:65], v[24:25], v[38:39] op_sel:[0,0,1] op_sel_hi:[1,1,0] neg_lo:[0,0,1] neg_hi:[0,0,1]
	s_waitcnt lgkmcnt(0)
	v_pk_mul_f32 v[34:35], v[34:35], v[16:17]
	v_mov_b32_e32 v29, v25
	v_pk_fma_f32 v[24:25], v[62:63], v[20:21], v[32:33] op_sel:[0,0,1] op_sel_hi:[1,1,0]
	v_pk_fma_f32 v[20:21], v[62:63], v[20:21], v[32:33] op_sel:[0,0,1] op_sel_hi:[1,1,0] neg_lo:[0,0,1] neg_hi:[0,0,1]
	s_mov_b32 s6, 0x3f737871
	v_mov_b32_e32 v25, v21
	v_pk_fma_f32 v[20:21], v[60:61], v[16:17], v[34:35] op_sel:[0,0,1] op_sel_hi:[1,1,0]
	v_pk_fma_f32 v[16:17], v[60:61], v[16:17], v[34:35] op_sel:[0,0,1] op_sel_hi:[1,1,0] neg_lo:[0,0,1] neg_hi:[0,0,1]
	v_pk_add_f32 v[32:33], v[28:29], v[24:25]
	v_mov_b32_e32 v21, v17
	v_pk_add_f32 v[34:35], v[70:71], v[20:21] neg_lo:[0,1] neg_hi:[0,1]
	v_pk_add_f32 v[16:17], v[12:13], v[70:71]
	v_pk_fma_f32 v[32:33], v[32:33], 0.5, v[12:13] op_sel_hi:[1,0,1] neg_lo:[1,0,0] neg_hi:[1,0,0]
	v_pk_mul_f32 v[36:37], v[34:35], s[6:7] op_sel_hi:[1,0]
	v_pk_add_f32 v[38:39], v[28:29], v[24:25] neg_lo:[0,1] neg_hi:[0,1]
	s_mov_b32 s16, 0x3f167918
	v_pk_add_f32 v[62:63], v[70:71], v[28:29] neg_lo:[0,1] neg_hi:[0,1]
	v_pk_add_f32 v[64:65], v[20:21], v[24:25] neg_lo:[0,1] neg_hi:[0,1]
	v_pk_add_f32 v[16:17], v[16:17], v[28:29]
	v_pk_mul_f32 v[60:61], v[38:39], s[16:17] op_sel_hi:[1,0]
	v_pk_add_f32 v[62:63], v[62:63], v[64:65]
	v_pk_add_f32 v[64:65], v[32:33], v[36:37] op_sel:[0,1] op_sel_hi:[1,0] neg_lo:[0,1] neg_hi:[0,1]
	v_pk_add_f32 v[16:17], v[16:17], v[24:25]
	v_pk_add_f32 v[32:33], v[32:33], v[36:37] op_sel:[0,1] op_sel_hi:[1,0]
	v_pk_add_f32 v[36:37], v[64:65], v[60:61] op_sel:[0,1] op_sel_hi:[1,0] neg_lo:[0,1] neg_hi:[0,1]
	v_pk_add_f32 v[64:65], v[70:71], v[20:21]
	v_pk_add_f32 v[16:17], v[16:17], v[20:21]
	v_pk_fma_f32 v[12:13], v[64:65], 0.5, v[12:13] op_sel_hi:[1,0,1] neg_lo:[1,0,0] neg_hi:[1,0,0]
	v_pk_add_f32 v[28:29], v[28:29], v[70:71] neg_lo:[0,1] neg_hi:[0,1]
	v_pk_add_f32 v[20:21], v[24:25], v[20:21] neg_lo:[0,1] neg_hi:[0,1]
	v_pk_mul_f32 v[24:25], v[38:39], s[6:7] op_sel_hi:[1,0]
	v_pk_add_f32 v[20:21], v[28:29], v[20:21]
	v_pk_mul_f32 v[28:29], v[34:35], s[16:17] op_sel_hi:[1,0]
	v_pk_add_f32 v[34:35], v[12:13], v[24:25] op_sel:[0,1] op_sel_hi:[1,0]
	v_pk_add_f32 v[12:13], v[12:13], v[24:25] op_sel:[0,1] op_sel_hi:[1,0] neg_lo:[0,1] neg_hi:[0,1]
	v_pk_add_f32 v[32:33], v[32:33], v[60:61] op_sel:[0,1] op_sel_hi:[1,0]
	v_pk_add_f32 v[12:13], v[12:13], v[28:29] op_sel:[0,1] op_sel_hi:[1,0]
	v_pk_add_f32 v[24:25], v[34:35], v[28:29] op_sel:[0,1] op_sel_hi:[1,0] neg_lo:[0,1] neg_hi:[0,1]
	s_mov_b32 s0, 0x3e9e377a
	v_mov_b32_e32 v60, v36
	v_mov_b32_e32 v61, v33
	;; [unrolled: 1-line block ×4, first 2 shown]
	v_pk_fma_f32 v[60:61], v[62:63], s[0:1], v[60:61] op_sel_hi:[1,0,1]
	v_pk_fma_f32 v[28:29], v[20:21], s[0:1], v[28:29] op_sel_hi:[1,0,1]
	v_add_u32_e32 v13, 0x600, v154
	ds_write2_b64 v13, v[60:61], v[28:29] offset0:29 offset1:250
	v_mov_b32_e32 v13, v25
	v_mov_b32_e32 v33, v37
	v_pk_mul_f32 v[44:45], v[44:45], v[30:31]
	v_pk_fma_f32 v[12:13], v[20:21], s[0:1], v[12:13] op_sel_hi:[1,0,1]
	v_pk_fma_f32 v[20:21], v[62:63], s[0:1], v[32:33] op_sel_hi:[1,0,1]
	v_add_u32_e32 v24, 0x1400, v154
	v_pk_mul_f32 v[46:47], v[46:47], v[26:27]
	ds_write2_b64 v24, v[12:13], v[20:21] offset0:23 offset1:244
	v_pk_fma_f32 v[12:13], v[58:59], v[30:31], v[44:45] op_sel:[0,0,1] op_sel_hi:[1,1,0]
	v_pk_fma_f32 v[20:21], v[58:59], v[30:31], v[44:45] op_sel:[0,0,1] op_sel_hi:[1,1,0] neg_lo:[0,0,1] neg_hi:[0,0,1]
	v_pk_mul_f32 v[40:41], v[40:41], v[22:23]
	v_mov_b32_e32 v13, v21
	v_pk_fma_f32 v[20:21], v[56:57], v[26:27], v[46:47] op_sel:[0,0,1] op_sel_hi:[1,1,0]
	v_pk_fma_f32 v[24:25], v[56:57], v[26:27], v[46:47] op_sel:[0,0,1] op_sel_hi:[1,1,0] neg_lo:[0,0,1] neg_hi:[0,0,1]
	v_pk_mul_f32 v[42:43], v[42:43], v[18:19]
	v_mov_b32_e32 v21, v25
	v_pk_fma_f32 v[24:25], v[54:55], v[22:23], v[40:41] op_sel:[0,0,1] op_sel_hi:[1,1,0]
	v_pk_fma_f32 v[22:23], v[54:55], v[22:23], v[40:41] op_sel:[0,0,1] op_sel_hi:[1,1,0] neg_lo:[0,0,1] neg_hi:[0,0,1]
	v_pk_add_f32 v[32:33], v[12:13], v[20:21] neg_lo:[0,1] neg_hi:[0,1]
	v_mov_b32_e32 v25, v23
	v_pk_fma_f32 v[22:23], v[48:49], v[18:19], v[42:43] op_sel:[0,0,1] op_sel_hi:[1,1,0]
	v_pk_fma_f32 v[18:19], v[48:49], v[18:19], v[42:43] op_sel:[0,0,1] op_sel_hi:[1,1,0] neg_lo:[0,0,1] neg_hi:[0,0,1]
	v_pk_add_f32 v[28:29], v[20:21], v[24:25] neg_lo:[0,1] neg_hi:[0,1]
	v_mov_b32_e32 v23, v19
	v_pk_add_f32 v[18:19], v[14:15], v[12:13]
	v_pk_add_f32 v[34:35], v[22:23], v[24:25] neg_lo:[0,1] neg_hi:[0,1]
	v_pk_add_f32 v[18:19], v[18:19], v[20:21]
	v_pk_mul_f32 v[30:31], v[28:29], s[16:17] op_sel_hi:[1,0]
	v_pk_add_f32 v[18:19], v[18:19], v[24:25]
	v_pk_add_f32 v[32:33], v[32:33], v[34:35]
	;; [unrolled: 1-line block ×3, first 2 shown]
	ds_write2_b64 v154, v[16:17], v[18:19] offset1:85
	v_pk_add_f32 v[16:17], v[20:21], v[24:25]
	v_pk_add_f32 v[18:19], v[12:13], v[22:23] neg_lo:[0,1] neg_hi:[0,1]
	v_pk_fma_f32 v[16:17], v[16:17], 0.5, v[14:15] op_sel_hi:[1,0,1] neg_lo:[1,0,0] neg_hi:[1,0,0]
	v_pk_mul_f32 v[26:27], v[18:19], s[6:7] op_sel_hi:[1,0]
	v_pk_mul_f32 v[18:19], v[18:19], s[16:17] op_sel_hi:[1,0]
	v_pk_add_f32 v[34:35], v[16:17], v[26:27] op_sel:[0,1] op_sel_hi:[1,0] neg_lo:[0,1] neg_hi:[0,1]
	v_pk_add_f32 v[16:17], v[16:17], v[26:27] op_sel:[0,1] op_sel_hi:[1,0]
	v_pk_add_f32 v[26:27], v[34:35], v[30:31] op_sel:[0,1] op_sel_hi:[1,0] neg_lo:[0,1] neg_hi:[0,1]
	v_pk_add_f32 v[34:35], v[12:13], v[22:23]
	v_pk_add_f32 v[12:13], v[20:21], v[12:13] neg_lo:[0,1] neg_hi:[0,1]
	v_pk_add_f32 v[20:21], v[24:25], v[22:23] neg_lo:[0,1] neg_hi:[0,1]
	v_pk_fma_f32 v[14:15], v[34:35], 0.5, v[14:15] op_sel_hi:[1,0,1] neg_lo:[1,0,0] neg_hi:[1,0,0]
	v_pk_add_f32 v[12:13], v[12:13], v[20:21]
	v_pk_mul_f32 v[20:21], v[28:29], s[6:7] op_sel_hi:[1,0]
	v_pk_add_f32 v[16:17], v[16:17], v[30:31] op_sel:[0,1] op_sel_hi:[1,0]
	v_pk_add_f32 v[22:23], v[14:15], v[20:21] op_sel:[0,1] op_sel_hi:[1,0]
	v_pk_add_f32 v[14:15], v[14:15], v[20:21] op_sel:[0,1] op_sel_hi:[1,0] neg_lo:[0,1] neg_hi:[0,1]
	v_mov_b32_e32 v30, v26
	v_pk_add_f32 v[14:15], v[14:15], v[18:19] op_sel:[0,1] op_sel_hi:[1,0]
	v_pk_add_f32 v[18:19], v[22:23], v[18:19] op_sel:[0,1] op_sel_hi:[1,0] neg_lo:[0,1] neg_hi:[0,1]
	v_mov_b32_e32 v31, v17
	v_mov_b32_e32 v20, v18
	v_mov_b32_e32 v21, v15
	v_pk_fma_f32 v[30:31], v[32:33], s[0:1], v[30:31] op_sel_hi:[1,0,1]
	v_pk_fma_f32 v[20:21], v[12:13], s[0:1], v[20:21] op_sel_hi:[1,0,1]
	v_add_u32_e32 v15, 0x600, v68
	ds_write2_b64 v15, v[30:31], v[20:21] offset0:29 offset1:250
	v_mov_b32_e32 v15, v19
	v_mov_b32_e32 v17, v27
	v_pk_fma_f32 v[12:13], v[12:13], s[0:1], v[14:15] op_sel_hi:[1,0,1]
	v_pk_fma_f32 v[14:15], v[32:33], s[0:1], v[16:17] op_sel_hi:[1,0,1]
	v_add_u32_e32 v16, 0x1400, v68
	ds_write2_b64 v16, v[12:13], v[14:15] offset0:23 offset1:244
	v_lshl_add_u32 v12, v243, 3, v238
	s_and_saveexec_b64 s[18:19], s[2:3]
	s_cbranch_execz .LBB0_21
; %bb.20:
	v_pk_mul_f32 v[14:15], v[10:11], v[50:51] op_sel:[0,1]
	v_pk_mul_f32 v[16:17], v[8:9], v[6:7] op_sel:[0,1]
	v_pk_fma_f32 v[22:23], v[10:11], v[50:51], v[14:15] op_sel:[0,0,1] op_sel_hi:[1,1,0]
	v_pk_fma_f32 v[10:11], v[10:11], v[50:51], v[14:15] op_sel:[0,0,1] op_sel_hi:[1,0,0] neg_lo:[1,0,0] neg_hi:[1,0,0]
	v_pk_mul_f32 v[18:19], v[0:1], v[52:53] op_sel:[0,1]
	v_mov_b32_e32 v23, v11
	v_pk_fma_f32 v[10:11], v[8:9], v[6:7], v[16:17] op_sel:[0,0,1] op_sel_hi:[1,1,0]
	v_pk_fma_f32 v[6:7], v[8:9], v[6:7], v[16:17] op_sel:[0,0,1] op_sel_hi:[1,0,0] neg_lo:[1,0,0] neg_hi:[1,0,0]
	v_pk_mul_f32 v[20:21], v[2:3], v[150:151] op_sel:[0,1]
	v_mov_b32_e32 v11, v7
	v_pk_fma_f32 v[6:7], v[0:1], v[52:53], v[18:19] op_sel:[0,0,1] op_sel_hi:[1,1,0]
	v_pk_fma_f32 v[0:1], v[0:1], v[52:53], v[18:19] op_sel:[0,0,1] op_sel_hi:[1,0,0] neg_lo:[1,0,0] neg_hi:[1,0,0]
	v_pk_add_f32 v[24:25], v[10:11], v[22:23] neg_lo:[0,1] neg_hi:[0,1]
	v_mov_b32_e32 v7, v1
	v_pk_fma_f32 v[0:1], v[2:3], v[150:151], v[20:21] op_sel:[0,0,1] op_sel_hi:[1,1,0]
	v_pk_fma_f32 v[2:3], v[2:3], v[150:151], v[20:21] op_sel:[0,0,1] op_sel_hi:[1,0,0] neg_lo:[1,0,0] neg_hi:[1,0,0]
	v_pk_add_f32 v[16:17], v[22:23], v[6:7]
	v_mov_b32_e32 v1, v3
	v_pk_add_f32 v[14:15], v[10:11], v[0:1] neg_lo:[0,1] neg_hi:[0,1]
	v_pk_add_f32 v[8:9], v[22:23], v[6:7] neg_lo:[0,1] neg_hi:[0,1]
	v_pk_fma_f32 v[16:17], v[16:17], 0.5, v[4:5] op_sel_hi:[1,0,1] neg_lo:[1,0,0] neg_hi:[1,0,0]
	v_pk_mul_f32 v[18:19], v[14:15], s[6:7] op_sel_hi:[1,0]
	v_pk_add_f32 v[26:27], v[0:1], v[6:7] neg_lo:[0,1] neg_hi:[0,1]
	v_pk_add_f32 v[2:3], v[4:5], v[10:11]
	v_pk_mul_f32 v[20:21], v[8:9], s[16:17] op_sel_hi:[1,0]
	v_pk_add_f32 v[24:25], v[24:25], v[26:27]
	v_pk_add_f32 v[26:27], v[16:17], v[18:19] op_sel:[0,1] op_sel_hi:[1,0] neg_lo:[0,1] neg_hi:[0,1]
	v_pk_add_f32 v[16:17], v[16:17], v[18:19] op_sel:[0,1] op_sel_hi:[1,0]
	v_pk_add_f32 v[2:3], v[2:3], v[22:23]
	v_pk_add_f32 v[16:17], v[16:17], v[20:21] op_sel:[0,1] op_sel_hi:[1,0]
	v_pk_add_f32 v[18:19], v[26:27], v[20:21] op_sel:[0,1] op_sel_hi:[1,0] neg_lo:[0,1] neg_hi:[0,1]
	v_pk_add_f32 v[2:3], v[2:3], v[6:7]
	v_mov_b32_e32 v20, v18
	v_mov_b32_e32 v21, v17
	v_pk_add_f32 v[2:3], v[2:3], v[0:1]
	v_pk_fma_f32 v[20:21], v[24:25], s[0:1], v[20:21] op_sel_hi:[1,0,1]
	v_add_u32_e32 v13, 0x500, v12
	v_pk_add_f32 v[6:7], v[6:7], v[0:1] neg_lo:[0,1] neg_hi:[0,1]
	v_pk_add_f32 v[0:1], v[10:11], v[0:1]
	ds_write2_b64 v13, v[2:3], v[20:21] offset0:10 offset1:231
	v_pk_add_f32 v[2:3], v[22:23], v[10:11] neg_lo:[0,1] neg_hi:[0,1]
	v_pk_fma_f32 v[0:1], v[0:1], 0.5, v[4:5] op_sel_hi:[1,0,1] neg_lo:[1,0,0] neg_hi:[1,0,0]
	v_pk_mul_f32 v[4:5], v[8:9], s[6:7] op_sel_hi:[1,0]
	v_pk_add_f32 v[2:3], v[2:3], v[6:7]
	v_pk_mul_f32 v[6:7], v[14:15], s[16:17] op_sel_hi:[1,0]
	v_pk_add_f32 v[8:9], v[0:1], v[4:5] op_sel:[0,1] op_sel_hi:[1,0]
	v_pk_add_f32 v[0:1], v[0:1], v[4:5] op_sel:[0,1] op_sel_hi:[1,0] neg_lo:[0,1] neg_hi:[0,1]
	v_pk_add_f32 v[4:5], v[8:9], v[6:7] op_sel:[0,1] op_sel_hi:[1,0] neg_lo:[0,1] neg_hi:[0,1]
	v_pk_add_f32 v[0:1], v[0:1], v[6:7] op_sel:[0,1] op_sel_hi:[1,0]
	v_mov_b32_e32 v6, v4
	v_mov_b32_e32 v7, v1
	;; [unrolled: 1-line block ×3, first 2 shown]
	v_pk_fma_f32 v[6:7], v[2:3], s[0:1], v[6:7] op_sel_hi:[1,0,1]
	v_pk_fma_f32 v[0:1], v[2:3], s[0:1], v[0:1] op_sel_hi:[1,0,1]
	v_add_u32_e32 v2, 0x1300, v12
	v_mov_b32_e32 v17, v19
	ds_write2_b64 v2, v[6:7], v[0:1] offset0:4 offset1:225
	v_pk_fma_f32 v[0:1], v[24:25], s[0:1], v[16:17] op_sel_hi:[1,0,1]
	ds_write_b64 v12, v[0:1] offset:8432
.LBB0_21:
	s_or_b64 exec, exec, s[18:19]
	s_waitcnt lgkmcnt(0)
	s_barrier
	s_and_b64 exec, exec, s[4:5]
	s_cbranch_execz .LBB0_23
; %bb.22:
	global_load_dwordx2 v[0:1], v238, s[12:13]
	v_mad_u64_u32 v[4:5], s[0:1], s10, v242, 0
	ds_read_b64 v[6:7], v154
	v_mad_u64_u32 v[8:9], s[2:3], s8, v240, 0
	v_mov_b32_e32 v10, v5
	v_mov_b32_e32 v14, v9
	v_mad_u64_u32 v[10:11], s[2:3], s11, v242, v[10:11]
	v_mov_b32_e32 v2, s14
	v_mov_b32_e32 v3, s15
	;; [unrolled: 3-line block ×3, first 2 shown]
	v_lshl_add_u64 v[2:3], v[4:5], 3, v[2:3]
	v_lshl_add_u64 v[4:5], v[8:9], 3, v[2:3]
	s_mov_b32 s0, 0x1da7801e
	s_mov_b32 s1, 0x3f4da780
	v_mov_b32_e32 v13, 0x208
	s_mul_i32 s2, s9, 0x208
	v_mov_b32_e32 v239, 0
	s_movk_i32 s3, 0x1000
	s_waitcnt vmcnt(0) lgkmcnt(0)
	v_mul_f32_e32 v2, v7, v1
	v_mul_f32_e32 v1, v6, v1
	v_fmac_f32_e32 v2, v6, v0
	v_fma_f32 v3, v0, v7, -v1
	v_cvt_f64_f32_e32 v[0:1], v2
	v_cvt_f64_f32_e32 v[2:3], v3
	v_mul_f64 v[0:1], v[0:1], s[0:1]
	v_mul_f64 v[2:3], v[2:3], s[0:1]
	v_cvt_f32_f64_e32 v0, v[0:1]
	v_cvt_f32_f64_e32 v1, v[2:3]
	global_store_dwordx2 v[4:5], v[0:1], off
	global_load_dwordx2 v[6:7], v238, s[12:13] offset:520
	ds_read2_b64 v[0:3], v12 offset0:65 offset1:130
	v_mad_u64_u32 v[4:5], s[4:5], s8, v13, v[4:5]
	v_add_u32_e32 v5, s2, v5
	s_waitcnt vmcnt(0) lgkmcnt(0)
	v_mul_f32_e32 v8, v1, v7
	v_mul_f32_e32 v7, v0, v7
	v_fmac_f32_e32 v8, v0, v6
	v_fma_f32 v6, v6, v1, -v7
	v_cvt_f64_f32_e32 v[0:1], v8
	v_cvt_f64_f32_e32 v[6:7], v6
	v_mul_f64 v[0:1], v[0:1], s[0:1]
	v_mul_f64 v[6:7], v[6:7], s[0:1]
	v_cvt_f32_f64_e32 v0, v[0:1]
	v_cvt_f32_f64_e32 v1, v[6:7]
	global_store_dwordx2 v[4:5], v[0:1], off
	global_load_dwordx2 v[0:1], v238, s[12:13] offset:1040
	v_mad_u64_u32 v[4:5], s[4:5], s8, v13, v[4:5]
	v_add_u32_e32 v5, s2, v5
	s_waitcnt vmcnt(0)
	v_mul_f32_e32 v6, v3, v1
	v_mul_f32_e32 v1, v2, v1
	v_fmac_f32_e32 v6, v2, v0
	v_fma_f32 v2, v0, v3, -v1
	v_cvt_f64_f32_e32 v[0:1], v6
	v_cvt_f64_f32_e32 v[2:3], v2
	v_mul_f64 v[0:1], v[0:1], s[0:1]
	v_mul_f64 v[2:3], v[2:3], s[0:1]
	v_cvt_f32_f64_e32 v0, v[0:1]
	v_cvt_f32_f64_e32 v1, v[2:3]
	global_store_dwordx2 v[4:5], v[0:1], off
	global_load_dwordx2 v[6:7], v238, s[12:13] offset:1560
	v_add_u32_e32 v0, 0x400, v12
	ds_read2_b64 v[0:3], v0 offset0:67 offset1:132
	v_mad_u64_u32 v[4:5], s[4:5], s8, v13, v[4:5]
	v_add_u32_e32 v5, s2, v5
	s_waitcnt vmcnt(0) lgkmcnt(0)
	v_mul_f32_e32 v8, v1, v7
	v_mul_f32_e32 v7, v0, v7
	v_fmac_f32_e32 v8, v0, v6
	v_fma_f32 v6, v6, v1, -v7
	v_cvt_f64_f32_e32 v[0:1], v8
	v_cvt_f64_f32_e32 v[6:7], v6
	v_mul_f64 v[0:1], v[0:1], s[0:1]
	v_mul_f64 v[6:7], v[6:7], s[0:1]
	v_cvt_f32_f64_e32 v0, v[0:1]
	v_cvt_f32_f64_e32 v1, v[6:7]
	global_store_dwordx2 v[4:5], v[0:1], off
	global_load_dwordx2 v[0:1], v238, s[12:13] offset:2080
	v_mad_u64_u32 v[4:5], s[4:5], s8, v13, v[4:5]
	v_add_u32_e32 v5, s2, v5
	s_waitcnt vmcnt(0)
	v_mul_f32_e32 v6, v3, v1
	v_mul_f32_e32 v1, v2, v1
	v_fmac_f32_e32 v6, v2, v0
	v_fma_f32 v2, v0, v3, -v1
	v_cvt_f64_f32_e32 v[0:1], v6
	v_cvt_f64_f32_e32 v[2:3], v2
	v_mul_f64 v[0:1], v[0:1], s[0:1]
	v_mul_f64 v[2:3], v[2:3], s[0:1]
	v_cvt_f32_f64_e32 v0, v[0:1]
	v_cvt_f32_f64_e32 v1, v[2:3]
	global_store_dwordx2 v[4:5], v[0:1], off
	global_load_dwordx2 v[6:7], v238, s[12:13] offset:2600
	v_add_u32_e32 v0, 0x800, v12
	;; [unrolled: 32-line block ×3, first 2 shown]
	ds_read2_b64 v[2:5], v2 offset0:71 offset1:136
	v_lshl_add_u64 v[0:1], s[12:13], 0, v[238:239]
	v_mad_u64_u32 v[6:7], s[4:5], s8, v13, v[6:7]
	v_add_co_u32_e32 v10, vcc, s3, v0
	v_add_u32_e32 v7, s2, v7
	s_nop 0
	v_addc_co_u32_e32 v11, vcc, 0, v1, vcc
	s_movk_i32 s3, 0x2000
	v_add_co_u32_e32 v0, vcc, s3, v0
	s_waitcnt vmcnt(0) lgkmcnt(0)
	v_mul_f32_e32 v14, v3, v9
	v_mul_f32_e32 v9, v2, v9
	v_fmac_f32_e32 v14, v2, v8
	v_fma_f32 v8, v8, v3, -v9
	v_cvt_f64_f32_e32 v[2:3], v14
	v_cvt_f64_f32_e32 v[8:9], v8
	v_mul_f64 v[2:3], v[2:3], s[0:1]
	v_mul_f64 v[8:9], v[8:9], s[0:1]
	v_cvt_f32_f64_e32 v2, v[2:3]
	v_cvt_f32_f64_e32 v3, v[8:9]
	global_store_dwordx2 v[6:7], v[2:3], off
	global_load_dwordx2 v[2:3], v[10:11], off offset:64
	v_mad_u64_u32 v[6:7], s[4:5], s8, v13, v[6:7]
	v_add_u32_e32 v7, s2, v7
	v_addc_co_u32_e32 v1, vcc, 0, v1, vcc
	s_waitcnt vmcnt(0)
	v_mul_f32_e32 v8, v5, v3
	v_mul_f32_e32 v3, v4, v3
	v_fmac_f32_e32 v8, v4, v2
	v_fma_f32 v4, v2, v5, -v3
	v_cvt_f64_f32_e32 v[2:3], v8
	v_cvt_f64_f32_e32 v[4:5], v4
	v_mul_f64 v[2:3], v[2:3], s[0:1]
	v_mul_f64 v[4:5], v[4:5], s[0:1]
	v_cvt_f32_f64_e32 v2, v[2:3]
	v_cvt_f32_f64_e32 v3, v[4:5]
	global_store_dwordx2 v[6:7], v[2:3], off
	global_load_dwordx2 v[8:9], v[10:11], off offset:584
	v_add_u32_e32 v2, 0x1000, v12
	ds_read2_b64 v[2:5], v2 offset0:73 offset1:138
	v_mad_u64_u32 v[6:7], s[4:5], s8, v13, v[6:7]
	v_add_u32_e32 v7, s2, v7
	s_waitcnt vmcnt(0) lgkmcnt(0)
	v_mul_f32_e32 v14, v3, v9
	v_mul_f32_e32 v9, v2, v9
	v_fmac_f32_e32 v14, v2, v8
	v_fma_f32 v8, v8, v3, -v9
	v_cvt_f64_f32_e32 v[2:3], v14
	v_cvt_f64_f32_e32 v[8:9], v8
	v_mul_f64 v[2:3], v[2:3], s[0:1]
	v_mul_f64 v[8:9], v[8:9], s[0:1]
	v_cvt_f32_f64_e32 v2, v[2:3]
	v_cvt_f32_f64_e32 v3, v[8:9]
	global_store_dwordx2 v[6:7], v[2:3], off
	global_load_dwordx2 v[2:3], v[10:11], off offset:1104
	v_mad_u64_u32 v[6:7], s[4:5], s8, v13, v[6:7]
	v_add_u32_e32 v7, s2, v7
	s_waitcnt vmcnt(0)
	v_mul_f32_e32 v8, v5, v3
	v_mul_f32_e32 v3, v4, v3
	v_fmac_f32_e32 v8, v4, v2
	v_fma_f32 v4, v2, v5, -v3
	v_cvt_f64_f32_e32 v[2:3], v8
	v_cvt_f64_f32_e32 v[4:5], v4
	v_mul_f64 v[2:3], v[2:3], s[0:1]
	v_mul_f64 v[4:5], v[4:5], s[0:1]
	v_cvt_f32_f64_e32 v2, v[2:3]
	v_cvt_f32_f64_e32 v3, v[4:5]
	global_store_dwordx2 v[6:7], v[2:3], off
	global_load_dwordx2 v[8:9], v[10:11], off offset:1624
	v_add_u32_e32 v2, 0x1400, v12
	ds_read2_b64 v[2:5], v2 offset0:75 offset1:140
	v_mad_u64_u32 v[6:7], s[4:5], s8, v13, v[6:7]
	v_add_u32_e32 v7, s2, v7
	s_waitcnt vmcnt(0) lgkmcnt(0)
	v_mul_f32_e32 v14, v3, v9
	v_mul_f32_e32 v9, v2, v9
	v_fmac_f32_e32 v14, v2, v8
	v_fma_f32 v8, v8, v3, -v9
	v_cvt_f64_f32_e32 v[2:3], v14
	v_cvt_f64_f32_e32 v[8:9], v8
	v_mul_f64 v[2:3], v[2:3], s[0:1]
	v_mul_f64 v[8:9], v[8:9], s[0:1]
	v_cvt_f32_f64_e32 v2, v[2:3]
	v_cvt_f32_f64_e32 v3, v[8:9]
	global_store_dwordx2 v[6:7], v[2:3], off
	global_load_dwordx2 v[2:3], v[10:11], off offset:2144
	v_mad_u64_u32 v[6:7], s[4:5], s8, v13, v[6:7]
	v_add_u32_e32 v7, s2, v7
	s_waitcnt vmcnt(0)
	v_mul_f32_e32 v8, v5, v3
	v_mul_f32_e32 v3, v4, v3
	v_fmac_f32_e32 v8, v4, v2
	v_fma_f32 v4, v2, v5, -v3
	v_cvt_f64_f32_e32 v[2:3], v8
	v_cvt_f64_f32_e32 v[4:5], v4
	v_mul_f64 v[2:3], v[2:3], s[0:1]
	v_mul_f64 v[4:5], v[4:5], s[0:1]
	v_cvt_f32_f64_e32 v2, v[2:3]
	v_cvt_f32_f64_e32 v3, v[4:5]
	global_store_dwordx2 v[6:7], v[2:3], off
	global_load_dwordx2 v[8:9], v[10:11], off offset:2664
	v_add_u32_e32 v2, 0x1800, v12
	ds_read2_b64 v[2:5], v2 offset0:77 offset1:142
	v_mad_u64_u32 v[6:7], s[4:5], s8, v13, v[6:7]
	v_add_u32_e32 v7, s2, v7
	s_waitcnt vmcnt(0) lgkmcnt(0)
	v_mul_f32_e32 v14, v3, v9
	v_mul_f32_e32 v9, v2, v9
	v_fmac_f32_e32 v14, v2, v8
	v_fma_f32 v8, v8, v3, -v9
	v_cvt_f64_f32_e32 v[2:3], v14
	v_cvt_f64_f32_e32 v[8:9], v8
	v_mul_f64 v[2:3], v[2:3], s[0:1]
	v_mul_f64 v[8:9], v[8:9], s[0:1]
	v_cvt_f32_f64_e32 v2, v[2:3]
	v_cvt_f32_f64_e32 v3, v[8:9]
	global_store_dwordx2 v[6:7], v[2:3], off
	global_load_dwordx2 v[2:3], v[10:11], off offset:3184
	v_mad_u64_u32 v[6:7], s[4:5], s8, v13, v[6:7]
	v_add_u32_e32 v7, s2, v7
	s_waitcnt vmcnt(0)
	v_mul_f32_e32 v8, v5, v3
	v_mul_f32_e32 v3, v4, v3
	v_fmac_f32_e32 v8, v4, v2
	v_fma_f32 v4, v2, v5, -v3
	v_cvt_f64_f32_e32 v[2:3], v8
	v_cvt_f64_f32_e32 v[4:5], v4
	v_mul_f64 v[2:3], v[2:3], s[0:1]
	v_mul_f64 v[4:5], v[4:5], s[0:1]
	v_cvt_f32_f64_e32 v2, v[2:3]
	v_cvt_f32_f64_e32 v3, v[4:5]
	global_store_dwordx2 v[6:7], v[2:3], off
	global_load_dwordx2 v[8:9], v[10:11], off offset:3704
	v_add_u32_e32 v2, 0x1c00, v12
	ds_read2_b64 v[2:5], v2 offset0:79 offset1:144
	v_mad_u64_u32 v[6:7], s[4:5], s8, v13, v[6:7]
	v_add_u32_e32 v7, s2, v7
	s_waitcnt vmcnt(0) lgkmcnt(0)
	v_mul_f32_e32 v10, v3, v9
	v_mul_f32_e32 v9, v2, v9
	v_fmac_f32_e32 v10, v2, v8
	v_fma_f32 v8, v8, v3, -v9
	v_cvt_f64_f32_e32 v[2:3], v10
	v_cvt_f64_f32_e32 v[8:9], v8
	v_mul_f64 v[2:3], v[2:3], s[0:1]
	v_mul_f64 v[8:9], v[8:9], s[0:1]
	v_cvt_f32_f64_e32 v2, v[2:3]
	v_cvt_f32_f64_e32 v3, v[8:9]
	global_store_dwordx2 v[6:7], v[2:3], off
	global_load_dwordx2 v[0:1], v[0:1], off offset:128
	v_mad_u64_u32 v[2:3], s[4:5], s8, v13, v[6:7]
	v_add_u32_e32 v3, s2, v3
	s_waitcnt vmcnt(0)
	v_mul_f32_e32 v6, v5, v1
	v_mul_f32_e32 v1, v4, v1
	v_fmac_f32_e32 v6, v4, v0
	v_fma_f32 v4, v0, v5, -v1
	v_cvt_f64_f32_e32 v[0:1], v6
	v_cvt_f64_f32_e32 v[4:5], v4
	v_mul_f64 v[0:1], v[0:1], s[0:1]
	v_mul_f64 v[4:5], v[4:5], s[0:1]
	v_cvt_f32_f64_e32 v0, v[0:1]
	v_cvt_f32_f64_e32 v1, v[4:5]
	global_store_dwordx2 v[2:3], v[0:1], off
.LBB0_23:
	s_endpgm
	.section	.rodata,"a",@progbits
	.p2align	6, 0x0
	.amdhsa_kernel bluestein_single_back_len1105_dim1_sp_op_CI_CI
		.amdhsa_group_segment_fixed_size 26520
		.amdhsa_private_segment_fixed_size 0
		.amdhsa_kernarg_size 104
		.amdhsa_user_sgpr_count 2
		.amdhsa_user_sgpr_dispatch_ptr 0
		.amdhsa_user_sgpr_queue_ptr 0
		.amdhsa_user_sgpr_kernarg_segment_ptr 1
		.amdhsa_user_sgpr_dispatch_id 0
		.amdhsa_user_sgpr_kernarg_preload_length 0
		.amdhsa_user_sgpr_kernarg_preload_offset 0
		.amdhsa_user_sgpr_private_segment_size 0
		.amdhsa_uses_dynamic_stack 0
		.amdhsa_enable_private_segment 0
		.amdhsa_system_sgpr_workgroup_id_x 1
		.amdhsa_system_sgpr_workgroup_id_y 0
		.amdhsa_system_sgpr_workgroup_id_z 0
		.amdhsa_system_sgpr_workgroup_info 0
		.amdhsa_system_vgpr_workitem_id 0
		.amdhsa_next_free_vgpr 286
		.amdhsa_next_free_sgpr 78
		.amdhsa_accum_offset 256
		.amdhsa_reserve_vcc 1
		.amdhsa_float_round_mode_32 0
		.amdhsa_float_round_mode_16_64 0
		.amdhsa_float_denorm_mode_32 3
		.amdhsa_float_denorm_mode_16_64 3
		.amdhsa_dx10_clamp 1
		.amdhsa_ieee_mode 1
		.amdhsa_fp16_overflow 0
		.amdhsa_tg_split 0
		.amdhsa_exception_fp_ieee_invalid_op 0
		.amdhsa_exception_fp_denorm_src 0
		.amdhsa_exception_fp_ieee_div_zero 0
		.amdhsa_exception_fp_ieee_overflow 0
		.amdhsa_exception_fp_ieee_underflow 0
		.amdhsa_exception_fp_ieee_inexact 0
		.amdhsa_exception_int_div_zero 0
	.end_amdhsa_kernel
	.text
.Lfunc_end0:
	.size	bluestein_single_back_len1105_dim1_sp_op_CI_CI, .Lfunc_end0-bluestein_single_back_len1105_dim1_sp_op_CI_CI
                                        ; -- End function
	.section	.AMDGPU.csdata,"",@progbits
; Kernel info:
; codeLenInByte = 22236
; NumSgprs: 84
; NumVgprs: 256
; NumAgprs: 30
; TotalNumVgprs: 286
; ScratchSize: 0
; MemoryBound: 0
; FloatMode: 240
; IeeeMode: 1
; LDSByteSize: 26520 bytes/workgroup (compile time only)
; SGPRBlocks: 10
; VGPRBlocks: 35
; NumSGPRsForWavesPerEU: 84
; NumVGPRsForWavesPerEU: 286
; AccumOffset: 256
; Occupancy: 1
; WaveLimiterHint : 1
; COMPUTE_PGM_RSRC2:SCRATCH_EN: 0
; COMPUTE_PGM_RSRC2:USER_SGPR: 2
; COMPUTE_PGM_RSRC2:TRAP_HANDLER: 0
; COMPUTE_PGM_RSRC2:TGID_X_EN: 1
; COMPUTE_PGM_RSRC2:TGID_Y_EN: 0
; COMPUTE_PGM_RSRC2:TGID_Z_EN: 0
; COMPUTE_PGM_RSRC2:TIDIG_COMP_CNT: 0
; COMPUTE_PGM_RSRC3_GFX90A:ACCUM_OFFSET: 63
; COMPUTE_PGM_RSRC3_GFX90A:TG_SPLIT: 0
	.text
	.p2alignl 6, 3212836864
	.fill 256, 4, 3212836864
	.type	__hip_cuid_3c3572bd6afcc911,@object ; @__hip_cuid_3c3572bd6afcc911
	.section	.bss,"aw",@nobits
	.globl	__hip_cuid_3c3572bd6afcc911
__hip_cuid_3c3572bd6afcc911:
	.byte	0                               ; 0x0
	.size	__hip_cuid_3c3572bd6afcc911, 1

	.ident	"AMD clang version 19.0.0git (https://github.com/RadeonOpenCompute/llvm-project roc-6.4.0 25133 c7fe45cf4b819c5991fe208aaa96edf142730f1d)"
	.section	".note.GNU-stack","",@progbits
	.addrsig
	.addrsig_sym __hip_cuid_3c3572bd6afcc911
	.amdgpu_metadata
---
amdhsa.kernels:
  - .agpr_count:     30
    .args:
      - .actual_access:  read_only
        .address_space:  global
        .offset:         0
        .size:           8
        .value_kind:     global_buffer
      - .actual_access:  read_only
        .address_space:  global
        .offset:         8
        .size:           8
        .value_kind:     global_buffer
      - .actual_access:  read_only
        .address_space:  global
        .offset:         16
        .size:           8
        .value_kind:     global_buffer
      - .actual_access:  read_only
        .address_space:  global
        .offset:         24
        .size:           8
        .value_kind:     global_buffer
      - .actual_access:  read_only
        .address_space:  global
        .offset:         32
        .size:           8
        .value_kind:     global_buffer
      - .offset:         40
        .size:           8
        .value_kind:     by_value
      - .address_space:  global
        .offset:         48
        .size:           8
        .value_kind:     global_buffer
      - .address_space:  global
        .offset:         56
        .size:           8
        .value_kind:     global_buffer
      - .address_space:  global
        .offset:         64
        .size:           8
        .value_kind:     global_buffer
      - .address_space:  global
        .offset:         72
        .size:           8
        .value_kind:     global_buffer
      - .offset:         80
        .size:           4
        .value_kind:     by_value
      - .address_space:  global
        .offset:         88
        .size:           8
        .value_kind:     global_buffer
      - .address_space:  global
        .offset:         96
        .size:           8
        .value_kind:     global_buffer
    .group_segment_fixed_size: 26520
    .kernarg_segment_align: 8
    .kernarg_segment_size: 104
    .language:       OpenCL C
    .language_version:
      - 2
      - 0
    .max_flat_workgroup_size: 255
    .name:           bluestein_single_back_len1105_dim1_sp_op_CI_CI
    .private_segment_fixed_size: 0
    .sgpr_count:     84
    .sgpr_spill_count: 0
    .symbol:         bluestein_single_back_len1105_dim1_sp_op_CI_CI.kd
    .uniform_work_group_size: 1
    .uses_dynamic_stack: false
    .vgpr_count:     286
    .vgpr_spill_count: 0
    .wavefront_size: 64
amdhsa.target:   amdgcn-amd-amdhsa--gfx950
amdhsa.version:
  - 1
  - 2
...

	.end_amdgpu_metadata
